;; amdgpu-corpus repo=ROCm/rocFFT kind=compiled arch=gfx950 opt=O3
	.text
	.amdgcn_target "amdgcn-amd-amdhsa--gfx950"
	.amdhsa_code_object_version 6
	.protected	bluestein_single_back_len187_dim1_dp_op_CI_CI ; -- Begin function bluestein_single_back_len187_dim1_dp_op_CI_CI
	.globl	bluestein_single_back_len187_dim1_dp_op_CI_CI
	.p2align	8
	.type	bluestein_single_back_len187_dim1_dp_op_CI_CI,@function
bluestein_single_back_len187_dim1_dp_op_CI_CI: ; @bluestein_single_back_len187_dim1_dp_op_CI_CI
; %bb.0:
	s_load_dwordx4 s[8:11], s[0:1], 0x28
	v_mul_u32_u24_e32 v1, 0xf10, v0
	v_lshrrev_b32_e32 v2, 16, v1
	v_mad_u64_u32 v[160:161], s[2:3], s2, 7, v[2:3]
	v_mov_b32_e32 v161, 0
	s_waitcnt lgkmcnt(0)
	v_cmp_gt_u64_e32 vcc, s[8:9], v[160:161]
	s_and_saveexec_b64 s[2:3], vcc
	s_cbranch_execz .LBB0_15
; %bb.1:
	v_mul_lo_u16_e32 v1, 17, v2
	s_mov_b32 s2, 0x24924925
	v_sub_u16_e32 v254, v0, v1
	v_mul_hi_u32 v0, v160, s2
	v_sub_u32_e32 v1, v160, v0
	v_lshrrev_b32_e32 v1, 1, v1
	v_add_u32_e32 v0, v1, v0
	s_load_dwordx2 s[8:9], s[0:1], 0x0
	s_load_dwordx2 s[12:13], s[0:1], 0x38
	v_lshrrev_b32_e32 v0, 2, v0
	v_mul_lo_u32 v0, v0, 7
	v_sub_u32_e32 v0, v160, v0
	v_mul_u32_u24_e32 v146, 0xbb, v0
	v_cmp_gt_u16_e32 vcc, 11, v254
	v_lshlrev_b32_e32 v161, 4, v254
	v_lshlrev_b32_e32 v255, 4, v146
	s_and_saveexec_b64 s[2:3], vcc
	s_cbranch_execz .LBB0_3
; %bb.2:
	s_load_dwordx2 s[4:5], s[0:1], 0x18
	v_mov_b32_e32 v0, s10
	v_mov_b32_e32 v1, s11
	;; [unrolled: 1-line block ×3, first 2 shown]
	v_or_b32_e32 v57, 0xb0, v254
	s_waitcnt lgkmcnt(0)
	s_load_dwordx4 s[4:7], s[4:5], 0x0
	v_lshl_add_u32 v142, v254, 4, v255
	s_waitcnt lgkmcnt(0)
	v_mad_u64_u32 v[2:3], s[10:11], s6, v160, 0
	v_mad_u64_u32 v[4:5], s[10:11], s4, v254, 0
	v_mov_b32_e32 v6, v3
	v_mov_b32_e32 v8, v5
	v_mad_u64_u32 v[6:7], s[6:7], s7, v160, v[6:7]
	v_mov_b32_e32 v3, v6
	v_mad_u64_u32 v[6:7], s[6:7], s5, v254, v[8:9]
	v_mov_b32_e32 v5, v6
	v_lshl_add_u64 v[52:53], v[2:3], 4, v[0:1]
	v_lshl_add_u64 v[4:5], v[4:5], 4, v[52:53]
	v_mad_u64_u32 v[20:21], s[6:7], s4, v56, v[4:5]
	s_mul_i32 s6, s5, 0xb0
	s_nop 0
	v_add_u32_e32 v21, s6, v21
	v_mad_u64_u32 v[54:55], s[10:11], s4, v56, v[20:21]
	global_load_dwordx4 v[0:3], v[4:5], off
	v_add_u32_e32 v55, s6, v55
	global_load_dwordx4 v[4:7], v161, s[8:9]
	global_load_dwordx4 v[8:11], v161, s[8:9] offset:176
	global_load_dwordx4 v[16:19], v[20:21], off
	global_load_dwordx4 v[12:15], v[54:55], off
	v_mad_u64_u32 v[54:55], s[10:11], s4, v56, v[54:55]
	v_add_u32_e32 v55, s6, v55
	global_load_dwordx4 v[20:23], v161, s[8:9] offset:352
	global_load_dwordx4 v[24:27], v161, s[8:9] offset:528
	;; [unrolled: 1-line block ×8, first 2 shown]
	global_load_dwordx4 v[58:61], v[54:55], off
	global_load_dwordx4 v[62:65], v161, s[8:9] offset:1760
	global_load_dwordx4 v[66:69], v161, s[8:9] offset:1936
	v_mad_u64_u32 v[54:55], s[10:11], s4, v56, v[54:55]
	v_add_u32_e32 v55, s6, v55
	global_load_dwordx4 v[70:73], v[54:55], off
	v_mad_u64_u32 v[54:55], s[10:11], s4, v56, v[54:55]
	v_add_u32_e32 v55, s6, v55
	global_load_dwordx4 v[74:77], v[54:55], off
	;; [unrolled: 3-line block ×5, first 2 shown]
	v_mad_u64_u32 v[54:55], s[10:11], s4, v56, v[54:55]
	v_add_u32_e32 v55, s6, v55
	v_mad_u64_u32 v[130:131], s[10:11], s4, v57, 0
	global_load_dwordx4 v[90:93], v[54:55], off
	v_mad_u64_u32 v[54:55], s[10:11], s4, v56, v[54:55]
	v_mov_b32_e32 v94, v131
	v_add_u32_e32 v55, s6, v55
	v_mad_u64_u32 v[98:99], s[10:11], s5, v57, v[94:95]
	global_load_dwordx4 v[94:97], v[54:55], off
	v_mad_u64_u32 v[54:55], s[10:11], s4, v56, v[54:55]
	v_add_u32_e32 v55, s6, v55
	v_mov_b32_e32 v131, v98
	global_load_dwordx4 v[98:101], v[54:55], off
	v_mad_u64_u32 v[54:55], s[10:11], s4, v56, v[54:55]
	v_add_u32_e32 v55, s6, v55
	global_load_dwordx4 v[102:105], v[54:55], off
	global_load_dwordx4 v[106:109], v161, s[8:9] offset:2112
	v_mad_u64_u32 v[54:55], s[10:11], s4, v56, v[54:55]
	v_add_u32_e32 v55, s6, v55
	global_load_dwordx4 v[110:113], v[54:55], off
	global_load_dwordx4 v[114:117], v161, s[8:9] offset:2288
	;; [unrolled: 4-line block ×3, first 2 shown]
	v_mad_u64_u32 v[54:55], s[4:5], s4, v56, v[54:55]
	v_add_u32_e32 v55, s6, v55
	global_load_dwordx4 v[54:57], v[54:55], off
	s_nop 0
	global_load_dwordx4 v[126:129], v161, s[8:9] offset:2640
	v_lshl_add_u64 v[52:53], v[130:131], 4, v[52:53]
	global_load_dwordx4 v[130:133], v[52:53], off
	global_load_dwordx4 v[138:141], v161, s[8:9] offset:2816
	s_waitcnt vmcnt(32)
	v_mul_f64 v[134:135], v[2:3], v[6:7]
	v_mul_f64 v[6:7], v[0:1], v[6:7]
	v_fmac_f64_e32 v[134:135], v[0:1], v[4:5]
	v_fma_f64 v[136:137], v[2:3], v[4:5], -v[6:7]
	s_waitcnt vmcnt(30)
	v_mul_f64 v[0:1], v[18:19], v[10:11]
	v_mul_f64 v[2:3], v[16:17], v[10:11]
	v_fmac_f64_e32 v[0:1], v[16:17], v[8:9]
	v_fma_f64 v[2:3], v[18:19], v[8:9], -v[2:3]
	s_waitcnt vmcnt(28)
	v_mul_f64 v[4:5], v[14:15], v[22:23]
	v_mul_f64 v[6:7], v[12:13], v[22:23]
	v_add_u32_e32 v8, v255, v161
	ds_write_b128 v142, v[134:137]
	v_fmac_f64_e32 v[4:5], v[12:13], v[20:21]
	v_fma_f64 v[6:7], v[14:15], v[20:21], -v[6:7]
	ds_write_b128 v8, v[0:3] offset:176
	ds_write_b128 v8, v[4:7] offset:352
	s_waitcnt vmcnt(20)
	v_mul_f64 v[0:1], v[60:61], v[26:27]
	v_mul_f64 v[2:3], v[58:59], v[26:27]
	v_fmac_f64_e32 v[0:1], v[58:59], v[24:25]
	v_fma_f64 v[2:3], v[60:61], v[24:25], -v[2:3]
	ds_write_b128 v8, v[0:3] offset:528
	s_waitcnt vmcnt(17)
	v_mul_f64 v[0:1], v[72:73], v[30:31]
	v_mul_f64 v[2:3], v[70:71], v[30:31]
	v_fmac_f64_e32 v[0:1], v[70:71], v[28:29]
	v_fma_f64 v[2:3], v[72:73], v[28:29], -v[2:3]
	;; [unrolled: 6-line block ×14, first 2 shown]
	ds_write_b128 v8, v[0:3] offset:2816
.LBB0_3:
	s_or_b64 exec, exec, s[2:3]
	s_load_dwordx2 s[2:3], s[0:1], 0x20
	s_load_dwordx2 s[4:5], s[0:1], 0x8
	s_waitcnt lgkmcnt(0)
	s_barrier
	s_waitcnt lgkmcnt(0)
                                        ; implicit-def: $vgpr24_vgpr25
                                        ; implicit-def: $vgpr28_vgpr29
                                        ; implicit-def: $vgpr32_vgpr33
                                        ; implicit-def: $vgpr36_vgpr37
                                        ; implicit-def: $vgpr40_vgpr41
                                        ; implicit-def: $vgpr44_vgpr45
                                        ; implicit-def: $vgpr48_vgpr49
                                        ; implicit-def: $vgpr52_vgpr53
                                        ; implicit-def: $vgpr56_vgpr57
                                        ; implicit-def: $vgpr60_vgpr61
                                        ; implicit-def: $vgpr64_vgpr65
                                        ; implicit-def: $vgpr68_vgpr69
                                        ; implicit-def: $vgpr72_vgpr73
                                        ; implicit-def: $vgpr76_vgpr77
                                        ; implicit-def: $vgpr80_vgpr81
                                        ; implicit-def: $vgpr84_vgpr85
                                        ; implicit-def: $vgpr88_vgpr89
	s_and_saveexec_b64 s[0:1], vcc
	s_cbranch_execz .LBB0_5
; %bb.4:
	v_lshl_add_u32 v0, v146, 4, v161
	ds_read_b128 v[24:27], v0
	ds_read_b128 v[28:31], v0 offset:176
	ds_read_b128 v[32:35], v0 offset:352
	;; [unrolled: 1-line block ×16, first 2 shown]
.LBB0_5:
	s_or_b64 exec, exec, s[0:1]
	s_mov_b32 s22, 0x5d8e7cdc
	s_waitcnt lgkmcnt(0)
	v_add_f64 v[100:101], v[30:31], -v[90:91]
	s_mov_b32 s0, 0x370991
	s_mov_b32 s23, 0xbfd71e95
	;; [unrolled: 1-line block ×3, first 2 shown]
	v_add_f64 v[130:131], v[28:29], v[88:89]
	v_add_f64 v[104:105], v[28:29], -v[88:89]
	s_mov_b32 s1, 0x3fedd6d0
	v_mul_f64 v[120:121], v[100:101], s[22:23]
	s_mov_b32 s14, 0x75d4884
	s_mov_b32 s29, 0xbfe58eea
	v_add_f64 v[102:103], v[34:35], -v[86:87]
	v_add_f64 v[134:135], v[30:31], v[90:91]
	v_mul_f64 v[122:123], v[104:105], s[22:23]
	v_fma_f64 v[0:1], s[0:1], v[130:131], v[120:121]
	s_mov_b32 s15, 0x3fe7a5f6
	s_mov_b32 s36, 0x7c9e640b
	v_add_f64 v[142:143], v[32:33], v[84:85]
	v_add_f64 v[106:107], v[32:33], -v[84:85]
	v_mul_f64 v[124:125], v[102:103], s[28:29]
	v_add_f64 v[0:1], v[24:25], v[0:1]
	v_fma_f64 v[2:3], v[134:135], s[0:1], -v[122:123]
	s_mov_b32 s6, 0x2b2883cd
	s_mov_b32 s37, 0xbfeca52d
	v_add_f64 v[144:145], v[34:35], v[86:87]
	v_mul_f64 v[126:127], v[106:107], s[28:29]
	v_fma_f64 v[4:5], s[14:15], v[142:143], v[124:125]
	v_add_f64 v[110:111], v[38:39], -v[82:83]
	v_add_f64 v[2:3], v[26:27], v[2:3]
	s_mov_b32 s7, 0x3fdc86fa
	s_mov_b32 s26, 0xeb564b22
	v_add_f64 v[0:1], v[4:5], v[0:1]
	v_fma_f64 v[4:5], v[144:145], s[14:15], -v[126:127]
	v_add_f64 v[148:149], v[36:37], v[80:81]
	v_add_f64 v[108:109], v[36:37], -v[80:81]
	v_mul_f64 v[128:129], v[110:111], s[36:37]
	s_mov_b32 s16, 0x3259b75e
	s_mov_b32 s27, 0xbfefdd0d
	v_add_f64 v[2:3], v[4:5], v[2:3]
	v_add_f64 v[150:151], v[38:39], v[82:83]
	v_mul_f64 v[136:137], v[108:109], s[36:37]
	v_fma_f64 v[4:5], s[6:7], v[148:149], v[128:129]
	v_add_f64 v[114:115], v[42:43], -v[78:79]
	s_mov_b32 s17, 0x3fb79ee6
	s_mov_b32 s30, 0x923c349f
	v_add_f64 v[0:1], v[4:5], v[0:1]
	v_fma_f64 v[4:5], v[150:151], s[6:7], -v[136:137]
	v_add_f64 v[156:157], v[40:41], v[76:77]
	v_add_f64 v[112:113], v[40:41], -v[76:77]
	v_mul_f64 v[138:139], v[114:115], s[26:27]
	s_mov_b32 s10, 0xc61f0d01
	s_mov_b32 s31, 0xbfeec746
	v_add_f64 v[2:3], v[4:5], v[2:3]
	v_add_f64 v[158:159], v[42:43], v[78:79]
	v_mul_f64 v[152:153], v[112:113], s[26:27]
	v_fma_f64 v[4:5], s[16:17], v[156:157], v[138:139]
	v_add_f64 v[118:119], v[46:47], -v[74:75]
	s_mov_b32 s11, 0xbfd183b1
	v_add_f64 v[0:1], v[4:5], v[0:1]
	v_fma_f64 v[4:5], v[158:159], s[16:17], -v[152:153]
	v_add_f64 v[164:165], v[44:45], v[72:73]
	v_mul_f64 v[154:155], v[118:119], s[30:31]
	v_add_f64 v[2:3], v[4:5], v[2:3]
	v_fma_f64 v[4:5], s[10:11], v[164:165], v[154:155]
	v_add_f64 v[116:117], v[44:45], -v[72:73]
	v_add_f64 v[0:1], v[4:5], v[0:1]
	v_mul_f64 v[4:5], v[116:117], s[30:31]
	v_add_f64 v[166:167], v[46:47], v[74:75]
	v_accvgpr_write_b32 a19, v5
	s_mov_b32 s40, 0x6c9a05f6
	v_accvgpr_write_b32 a18, v4
	v_fma_f64 v[4:5], v[166:167], s[10:11], -v[4:5]
	s_mov_b32 s41, 0xbfe9895b
	v_add_f64 v[252:253], v[50:51], -v[70:71]
	v_add_f64 v[2:3], v[4:5], v[2:3]
	s_mov_b32 s18, 0x6ed5f1bb
	v_mul_f64 v[4:5], v[252:253], s[40:41]
	s_mov_b32 s19, 0xbfe348c8
	v_add_f64 v[170:171], v[48:49], v[68:69]
	v_accvgpr_write_b32 a21, v5
	v_accvgpr_write_b32 a20, v4
	v_fma_f64 v[4:5], s[18:19], v[170:171], v[4:5]
	v_add_f64 v[248:249], v[48:49], -v[68:69]
	v_add_f64 v[0:1], v[4:5], v[0:1]
	v_mul_f64 v[4:5], v[248:249], s[40:41]
	v_add_f64 v[174:175], v[50:51], v[70:71]
	v_accvgpr_write_b32 a23, v5
	s_mov_b32 s44, 0x4363dd80
	v_accvgpr_write_b32 a22, v4
	v_fma_f64 v[4:5], v[174:175], s[18:19], -v[4:5]
	s_mov_b32 s45, 0x3fe0d888
	s_mov_b32 s39, 0xbfe0d888
	;; [unrolled: 1-line block ×3, first 2 shown]
	v_add_f64 v[140:141], v[54:55], -v[66:67]
	v_add_f64 v[2:3], v[4:5], v[2:3]
	s_mov_b32 s20, 0x910ea3b9
	v_mul_f64 v[4:5], v[140:141], s[38:39]
	s_mov_b32 s21, 0xbfeb34fa
	v_add_f64 v[178:179], v[52:53], v[64:65]
	v_accvgpr_write_b32 a25, v5
	v_accvgpr_write_b32 a24, v4
	v_fma_f64 v[4:5], s[20:21], v[178:179], v[4:5]
	v_add_f64 v[132:133], v[52:53], -v[64:65]
	v_add_f64 v[0:1], v[4:5], v[0:1]
	v_mul_f64 v[4:5], v[132:133], s[38:39]
	v_add_f64 v[180:181], v[54:55], v[66:67]
	v_accvgpr_write_b32 a27, v5
	s_mov_b32 s42, 0xacd6c6b4
	v_accvgpr_write_b32 a26, v4
	v_fma_f64 v[4:5], v[180:181], s[20:21], -v[4:5]
	s_mov_b32 s43, 0xbfc7851a
	v_add_f64 v[184:185], v[58:59], -v[62:63]
	v_add_f64 v[2:3], v[4:5], v[2:3]
	s_mov_b32 s24, 0x7faef3
	v_mul_f64 v[4:5], v[184:185], s[42:43]
	s_mov_b32 s25, 0xbfef7484
	v_add_f64 v[192:193], v[56:57], v[60:61]
	v_accvgpr_write_b32 a29, v5
	v_accvgpr_write_b32 a28, v4
	v_fma_f64 v[4:5], s[24:25], v[192:193], v[4:5]
	v_add_f64 v[182:183], v[56:57], -v[60:61]
	v_add_f64 v[0:1], v[4:5], v[0:1]
	v_mul_f64 v[4:5], v[182:183], s[42:43]
	v_add_f64 v[200:201], v[58:59], v[62:63]
	v_accvgpr_write_b32 a31, v5
	v_accvgpr_write_b32 a30, v4
	v_fma_f64 v[4:5], v[200:201], s[24:25], -v[4:5]
	v_add_f64 v[2:3], v[4:5], v[2:3]
	v_accvgpr_write_b32 a0, v0
	v_accvgpr_write_b32 a1, v1
	;; [unrolled: 1-line block ×4, first 2 shown]
	v_mul_f64 v[0:1], v[100:101], s[28:29]
	v_accvgpr_write_b32 a33, v1
	v_accvgpr_write_b32 a32, v0
	v_fma_f64 v[4:5], s[14:15], v[130:131], v[0:1]
	v_mul_f64 v[0:1], v[102:103], s[26:27]
	v_accvgpr_write_b32 a35, v1
	v_accvgpr_write_b32 a34, v0
	v_fma_f64 v[6:7], s[16:17], v[142:143], v[0:1]
	v_mul_f64 v[0:1], v[104:105], s[28:29]
	v_add_f64 v[4:5], v[24:25], v[4:5]
	v_accvgpr_write_b32 a41, v1
	v_add_f64 v[4:5], v[6:7], v[4:5]
	v_accvgpr_write_b32 a40, v0
	v_fma_f64 v[6:7], v[134:135], s[14:15], -v[0:1]
	v_mul_f64 v[0:1], v[106:107], s[26:27]
	v_accvgpr_write_b32 a43, v1
	v_accvgpr_write_b32 a42, v0
	v_fma_f64 v[8:9], v[144:145], s[16:17], -v[0:1]
	v_mul_f64 v[0:1], v[110:111], s[40:41]
	v_add_f64 v[6:7], v[26:27], v[6:7]
	v_accvgpr_write_b32 a37, v1
	v_add_f64 v[6:7], v[8:9], v[6:7]
	v_accvgpr_write_b32 a36, v0
	v_fma_f64 v[8:9], s[18:19], v[148:149], v[0:1]
	v_mul_f64 v[0:1], v[108:109], s[40:41]
	v_accvgpr_write_b32 a47, v1
	v_add_f64 v[4:5], v[8:9], v[4:5]
	v_accvgpr_write_b32 a46, v0
	v_fma_f64 v[8:9], v[150:151], s[18:19], -v[0:1]
	v_mul_f64 v[0:1], v[114:115], s[42:43]
	v_accvgpr_write_b32 a39, v1
	v_add_f64 v[6:7], v[8:9], v[6:7]
	v_accvgpr_write_b32 a38, v0
	v_fma_f64 v[8:9], s[24:25], v[156:157], v[0:1]
	v_mul_f64 v[0:1], v[112:113], s[42:43]
	v_accvgpr_write_b32 a51, v1
	v_add_f64 v[4:5], v[8:9], v[4:5]
	v_accvgpr_write_b32 a50, v0
	v_fma_f64 v[8:9], v[158:159], s[24:25], -v[0:1]
	v_mul_f64 v[0:1], v[118:119], s[44:45]
	v_accvgpr_write_b32 a45, v1
	v_add_f64 v[6:7], v[8:9], v[6:7]
	v_accvgpr_write_b32 a44, v0
	v_fma_f64 v[8:9], s[20:21], v[164:165], v[0:1]
	v_mul_f64 v[0:1], v[116:117], s[44:45]
	v_accvgpr_write_b32 a55, v1
	s_mov_b32 s49, 0x3feec746
	s_mov_b32 s48, s30
	v_add_f64 v[4:5], v[8:9], v[4:5]
	v_accvgpr_write_b32 a54, v0
	v_fma_f64 v[8:9], v[166:167], s[20:21], -v[0:1]
	v_mul_f64 v[0:1], v[252:253], s[48:49]
	v_accvgpr_write_b32 a49, v1
	v_add_f64 v[6:7], v[8:9], v[6:7]
	v_accvgpr_write_b32 a48, v0
	v_fma_f64 v[8:9], s[10:11], v[170:171], v[0:1]
	v_mul_f64 v[0:1], v[248:249], s[48:49]
	v_accvgpr_write_b32 a59, v1
	s_mov_b32 s47, 0x3feca52d
	s_mov_b32 s46, s36
	;; [unrolled: 12-line block ×3, first 2 shown]
	v_add_f64 v[4:5], v[8:9], v[4:5]
	v_accvgpr_write_b32 a60, v0
	v_fma_f64 v[8:9], v[180:181], s[6:7], -v[0:1]
	v_mul_f64 v[0:1], v[184:185], s[52:53]
	v_add_f64 v[6:7], v[8:9], v[6:7]
	v_accvgpr_write_b32 a57, v1
	v_fma_f64 v[8:9], s[0:1], v[192:193], v[0:1]
	v_accvgpr_write_b32 a56, v0
	v_add_f64 v[0:1], v[8:9], v[4:5]
	v_mul_f64 v[4:5], v[182:183], s[52:53]
	v_fma_f64 v[8:9], v[200:201], s[0:1], -v[4:5]
	v_add_f64 v[2:3], v[8:9], v[6:7]
	v_accvgpr_write_b32 a7, v3
	v_accvgpr_write_b32 a6, v2
	;; [unrolled: 1-line block ×4, first 2 shown]
	v_mul_f64 v[0:1], v[102:103], s[40:41]
	v_mul_f64 v[6:7], v[100:101], s[36:37]
	v_accvgpr_write_b32 a63, v1
	v_fma_f64 v[8:9], s[6:7], v[130:131], v[6:7]
	v_accvgpr_write_b32 a62, v0
	v_fma_f64 v[10:11], s[18:19], v[142:143], v[0:1]
	v_mul_f64 v[0:1], v[104:105], s[36:37]
	v_add_f64 v[8:9], v[24:25], v[8:9]
	v_accvgpr_write_b32 a75, v1
	v_add_f64 v[8:9], v[10:11], v[8:9]
	v_accvgpr_write_b32 a74, v0
	v_fma_f64 v[10:11], v[134:135], s[6:7], -v[0:1]
	v_mul_f64 v[0:1], v[106:107], s[40:41]
	v_accvgpr_write_b32 a77, v1
	s_mov_b32 s55, 0x3fc7851a
	s_mov_b32 s54, s42
	v_accvgpr_write_b32 a76, v0
	v_fma_f64 v[12:13], v[144:145], s[18:19], -v[0:1]
	v_mul_f64 v[0:1], v[110:111], s[54:55]
	v_add_f64 v[10:11], v[26:27], v[10:11]
	v_accvgpr_write_b32 a65, v1
	v_add_f64 v[10:11], v[12:13], v[10:11]
	v_accvgpr_write_b32 a64, v0
	v_fma_f64 v[12:13], s[24:25], v[148:149], v[0:1]
	v_mul_f64 v[0:1], v[108:109], s[54:55]
	v_accvgpr_write_b32 a81, v1
	v_add_f64 v[8:9], v[12:13], v[8:9]
	v_accvgpr_write_b32 a80, v0
	v_fma_f64 v[12:13], v[150:151], s[24:25], -v[0:1]
	v_mul_f64 v[0:1], v[114:115], s[48:49]
	v_accvgpr_write_b32 a67, v1
	v_add_f64 v[10:11], v[12:13], v[10:11]
	v_accvgpr_write_b32 a66, v0
	v_fma_f64 v[12:13], s[10:11], v[156:157], v[0:1]
	v_mul_f64 v[0:1], v[112:113], s[48:49]
	v_accvgpr_write_b32 a83, v1
	s_mov_b32 s51, 0x3fe58eea
	s_mov_b32 s50, s28
	v_add_f64 v[8:9], v[12:13], v[8:9]
	v_accvgpr_write_b32 a82, v0
	v_fma_f64 v[12:13], v[158:159], s[10:11], -v[0:1]
	v_mul_f64 v[0:1], v[118:119], s[50:51]
	v_accvgpr_write_b32 a69, v1
	v_add_f64 v[10:11], v[12:13], v[10:11]
	v_accvgpr_write_b32 a68, v0
	v_fma_f64 v[12:13], s[14:15], v[164:165], v[0:1]
	v_mul_f64 v[0:1], v[116:117], s[50:51]
	v_accvgpr_write_b32 a85, v1
	v_add_f64 v[8:9], v[12:13], v[8:9]
	v_accvgpr_write_b32 a84, v0
	v_fma_f64 v[12:13], v[166:167], s[14:15], -v[0:1]
	v_mul_f64 v[0:1], v[252:253], s[22:23]
	v_accvgpr_write_b32 a71, v1
	v_add_f64 v[10:11], v[12:13], v[10:11]
	v_accvgpr_write_b32 a70, v0
	v_fma_f64 v[12:13], s[0:1], v[170:171], v[0:1]
	v_mul_f64 v[0:1], v[248:249], s[22:23]
	v_accvgpr_write_b32 a87, v1
	;; [unrolled: 10-line block ×3, first 2 shown]
	v_add_f64 v[8:9], v[12:13], v[8:9]
	v_accvgpr_write_b32 a88, v0
	v_fma_f64 v[12:13], v[180:181], s[16:17], -v[0:1]
	v_mul_f64 v[0:1], v[184:185], s[38:39]
	v_add_f64 v[10:11], v[12:13], v[10:11]
	v_accvgpr_write_b32 a79, v1
	v_fma_f64 v[12:13], s[20:21], v[192:193], v[0:1]
	v_accvgpr_write_b32 a78, v0
	v_add_f64 v[0:1], v[12:13], v[8:9]
	v_mul_f64 v[8:9], v[182:183], s[38:39]
	v_fma_f64 v[12:13], v[200:201], s[20:21], -v[8:9]
	v_add_f64 v[2:3], v[12:13], v[10:11]
	v_accvgpr_write_b32 a11, v3
	v_accvgpr_write_b32 a10, v2
	;; [unrolled: 1-line block ×4, first 2 shown]
	v_mul_f64 v[0:1], v[102:103], s[42:43]
	v_mul_f64 v[10:11], v[100:101], s[26:27]
	v_accvgpr_write_b32 a91, v1
	v_fma_f64 v[12:13], s[16:17], v[130:131], v[10:11]
	v_accvgpr_write_b32 a90, v0
	v_fma_f64 v[14:15], s[24:25], v[142:143], v[0:1]
	v_mul_f64 v[0:1], v[104:105], s[26:27]
	v_add_f64 v[12:13], v[24:25], v[12:13]
	v_accvgpr_write_b32 a105, v1
	v_add_f64 v[12:13], v[14:15], v[12:13]
	v_accvgpr_write_b32 a104, v0
	v_fma_f64 v[14:15], v[134:135], s[16:17], -v[0:1]
	v_mul_f64 v[0:1], v[106:107], s[42:43]
	v_accvgpr_write_b32 a109, v1
	v_accvgpr_write_b32 a108, v0
	v_fma_f64 v[16:17], v[144:145], s[24:25], -v[0:1]
	v_mul_f64 v[0:1], v[110:111], s[48:49]
	v_add_f64 v[14:15], v[26:27], v[14:15]
	v_accvgpr_write_b32 a101, v1
	v_add_f64 v[14:15], v[16:17], v[14:15]
	v_accvgpr_write_b32 a100, v0
	v_fma_f64 v[16:17], s[10:11], v[148:149], v[0:1]
	v_mul_f64 v[0:1], v[108:109], s[48:49]
	v_accvgpr_write_b32 a113, v1
	v_add_f64 v[12:13], v[16:17], v[12:13]
	v_accvgpr_write_b32 a112, v0
	v_fma_f64 v[16:17], v[150:151], s[10:11], -v[0:1]
	v_mul_f64 v[0:1], v[114:115], s[52:53]
	v_accvgpr_write_b32 a103, v1
	v_add_f64 v[14:15], v[16:17], v[14:15]
	v_accvgpr_write_b32 a102, v0
	v_fma_f64 v[16:17], s[0:1], v[156:157], v[0:1]
	v_mul_f64 v[0:1], v[112:113], s[52:53]
	v_accvgpr_write_b32 a119, v1
	v_add_f64 v[12:13], v[16:17], v[12:13]
	v_accvgpr_write_b32 a118, v0
	v_fma_f64 v[16:17], v[158:159], s[0:1], -v[0:1]
	v_mul_f64 v[0:1], v[118:119], s[36:37]
	v_add_f64 v[14:15], v[16:17], v[14:15]
	v_accvgpr_write_b32 a107, v1
	v_fma_f64 v[16:17], s[6:7], v[164:165], v[0:1]
	v_mul_f64 v[168:169], v[116:117], s[36:37]
	v_accvgpr_write_b32 a106, v0
	v_add_f64 v[12:13], v[16:17], v[12:13]
	v_fma_f64 v[16:17], v[166:167], s[6:7], -v[168:169]
	v_mul_f64 v[0:1], v[252:253], s[38:39]
	v_add_f64 v[14:15], v[16:17], v[14:15]
	v_accvgpr_write_b32 a111, v1
	v_fma_f64 v[16:17], s[20:21], v[170:171], v[0:1]
	v_mul_f64 v[172:173], v[248:249], s[38:39]
	s_mov_b32 s57, 0x3fe9895b
	s_mov_b32 s56, s40
	v_accvgpr_write_b32 a110, v0
	v_add_f64 v[12:13], v[16:17], v[12:13]
	v_fma_f64 v[16:17], v[174:175], s[20:21], -v[172:173]
	v_mul_f64 v[0:1], v[140:141], s[56:57]
	v_add_f64 v[14:15], v[16:17], v[14:15]
	v_fma_f64 v[16:17], s[18:19], v[178:179], v[0:1]
	v_mul_f64 v[176:177], v[132:133], s[56:57]
	v_add_f64 v[12:13], v[16:17], v[12:13]
	v_fma_f64 v[16:17], v[180:181], s[18:19], -v[176:177]
	v_mul_f64 v[162:163], v[184:185], s[50:51]
	v_accvgpr_write_b32 a117, v1
	v_add_f64 v[14:15], v[16:17], v[14:15]
	v_fma_f64 v[16:17], s[14:15], v[192:193], v[162:163]
	v_mul_f64 v[186:187], v[182:183], s[50:51]
	v_accvgpr_write_b32 a116, v0
	v_add_f64 v[0:1], v[16:17], v[12:13]
	v_fma_f64 v[16:17], v[200:201], s[14:15], -v[186:187]
	v_mul_f64 v[188:189], v[100:101], s[30:31]
	v_add_f64 v[2:3], v[16:17], v[14:15]
	v_fma_f64 v[16:17], s[10:11], v[130:131], v[188:189]
	v_mul_f64 v[190:191], v[102:103], s[44:45]
	v_add_f64 v[16:17], v[24:25], v[16:17]
	v_fma_f64 v[18:19], s[20:21], v[142:143], v[190:191]
	v_mul_f64 v[198:199], v[104:105], s[30:31]
	v_add_f64 v[16:17], v[18:19], v[16:17]
	v_fma_f64 v[18:19], v[134:135], s[10:11], -v[198:199]
	v_mul_f64 v[204:205], v[106:107], s[44:45]
	v_add_f64 v[18:19], v[26:27], v[18:19]
	v_fma_f64 v[20:21], v[144:145], s[20:21], -v[204:205]
	v_mul_f64 v[194:195], v[110:111], s[50:51]
	v_add_f64 v[18:19], v[20:21], v[18:19]
	v_fma_f64 v[20:21], s[14:15], v[148:149], v[194:195]
	v_mul_f64 v[208:209], v[108:109], s[50:51]
	v_add_f64 v[16:17], v[20:21], v[16:17]
	v_fma_f64 v[20:21], v[150:151], s[14:15], -v[208:209]
	v_mul_f64 v[196:197], v[114:115], s[36:37]
	v_add_f64 v[18:19], v[20:21], v[18:19]
	v_fma_f64 v[20:21], s[6:7], v[156:157], v[196:197]
	;; [unrolled: 6-line block ×3, first 2 shown]
	v_mul_f64 v[216:217], v[116:117], s[42:43]
	s_mov_b32 s59, 0x3fefdd0d
	s_mov_b32 s58, s26
	v_add_f64 v[16:17], v[20:21], v[16:17]
	v_fma_f64 v[20:21], v[166:167], s[24:25], -v[216:217]
	v_mul_f64 v[206:207], v[252:253], s[58:59]
	v_add_f64 v[18:19], v[20:21], v[18:19]
	v_fma_f64 v[20:21], s[16:17], v[170:171], v[206:207]
	v_mul_f64 v[92:93], v[248:249], s[58:59]
	v_add_f64 v[16:17], v[20:21], v[16:17]
	v_fma_f64 v[20:21], v[174:175], s[16:17], -v[92:93]
	v_mul_f64 v[210:211], v[140:141], s[22:23]
	v_add_f64 v[18:19], v[20:21], v[18:19]
	v_fma_f64 v[20:21], s[0:1], v[178:179], v[210:211]
	v_mul_f64 v[94:95], v[132:133], s[22:23]
	v_add_f64 v[16:17], v[20:21], v[16:17]
	v_fma_f64 v[20:21], v[180:181], s[0:1], -v[94:95]
	v_mul_f64 v[214:215], v[184:185], s[40:41]
	v_accvgpr_write_b32 a15, v3
	v_add_f64 v[18:19], v[20:21], v[18:19]
	v_fma_f64 v[20:21], s[18:19], v[192:193], v[214:215]
	v_mul_f64 v[218:219], v[182:183], s[40:41]
	v_accvgpr_write_b32 a14, v2
	v_accvgpr_write_b32 a13, v1
	;; [unrolled: 1-line block ×3, first 2 shown]
	v_add_f64 v[0:1], v[20:21], v[16:17]
	v_fma_f64 v[20:21], v[200:201], s[18:19], -v[218:219]
	v_mul_f64 v[220:221], v[100:101], s[40:41]
	v_add_f64 v[2:3], v[20:21], v[18:19]
	v_fma_f64 v[20:21], s[18:19], v[130:131], v[220:221]
	v_mul_f64 v[222:223], v[102:103], s[48:49]
	v_add_f64 v[20:21], v[24:25], v[20:21]
	v_fma_f64 v[22:23], s[10:11], v[142:143], v[222:223]
	v_mul_f64 v[96:97], v[104:105], s[40:41]
	v_add_f64 v[20:21], v[22:23], v[20:21]
	v_fma_f64 v[22:23], v[134:135], s[18:19], -v[96:97]
	v_mul_f64 v[228:229], v[106:107], s[48:49]
	v_add_f64 v[22:23], v[26:27], v[22:23]
	v_fma_f64 v[98:99], v[144:145], s[10:11], -v[228:229]
	v_mul_f64 v[224:225], v[110:111], s[22:23]
	v_add_f64 v[22:23], v[98:99], v[22:23]
	v_fma_f64 v[98:99], s[0:1], v[148:149], v[224:225]
	v_mul_f64 v[232:233], v[108:109], s[22:23]
	v_add_f64 v[20:21], v[98:99], v[20:21]
	v_fma_f64 v[98:99], v[150:151], s[0:1], -v[232:233]
	v_mul_f64 v[226:227], v[114:115], s[38:39]
	v_add_f64 v[22:23], v[98:99], v[22:23]
	v_fma_f64 v[98:99], s[20:21], v[156:157], v[226:227]
	v_mul_f64 v[236:237], v[112:113], s[38:39]
	v_add_f64 v[20:21], v[98:99], v[20:21]
	v_fma_f64 v[98:99], v[158:159], s[20:21], -v[236:237]
	v_add_f64 v[22:23], v[98:99], v[22:23]
	v_mul_f64 v[98:99], v[118:119], s[58:59]
	v_fma_f64 v[230:231], s[16:17], v[164:165], v[98:99]
	v_mul_f64 v[240:241], v[116:117], s[58:59]
	v_add_f64 v[20:21], v[230:231], v[20:21]
	v_fma_f64 v[230:231], v[166:167], s[16:17], -v[240:241]
	v_add_f64 v[22:23], v[230:231], v[22:23]
	v_mul_f64 v[230:231], v[252:253], s[28:29]
	;; [unrolled: 6-line block ×4, first 2 shown]
	v_fma_f64 v[246:247], s[6:7], v[192:193], v[238:239]
	v_add_f64 v[18:19], v[246:247], v[20:21]
	v_mul_f64 v[246:247], v[182:183], s[46:47]
	v_accvgpr_write_b32 a99, v3
	v_fma_f64 v[250:251], v[200:201], s[6:7], -v[246:247]
	v_accvgpr_write_b32 a98, v2
	v_accvgpr_write_b32 a97, v1
	;; [unrolled: 1-line block ×3, first 2 shown]
	v_add_f64 v[20:21], v[250:251], v[22:23]
	s_barrier
	s_and_saveexec_b64 s[34:35], vcc
	s_cbranch_execz .LBB0_7
; %bb.6:
	v_mul_f64 v[250:251], v[134:135], s[24:25]
	v_accvgpr_write_b32 a114, v120
	v_mov_b32_e32 v12, v254
	v_mov_b32_e32 v13, v255
	v_fma_f64 v[254:255], s[54:55], v[104:105], v[250:251]
	v_accvgpr_write_b32 a115, v121
	v_mul_f64 v[120:121], v[144:145], s[0:1]
	v_accvgpr_write_b32 a125, v123
	v_add_f64 v[254:255], v[26:27], v[254:255]
	v_accvgpr_write_b32 a124, v122
	v_fma_f64 v[122:123], s[22:23], v[106:107], v[120:121]
	v_add_f64 v[122:123], v[122:123], v[254:255]
	v_mul_f64 v[254:255], v[150:151], s[20:21]
	v_accvgpr_write_b32 a120, v124
	v_accvgpr_write_b32 a121, v125
	v_fma_f64 v[124:125], s[44:45], v[108:109], v[254:255]
	v_add_f64 v[122:123], v[124:125], v[122:123]
	v_mul_f64 v[124:125], v[158:159], s[14:15]
	v_fma_f64 v[0:1], s[28:29], v[112:113], v[124:125]
	v_mul_f64 v[2:3], v[166:167], s[18:19]
	v_add_f64 v[0:1], v[0:1], v[122:123]
	v_fma_f64 v[122:123], s[56:57], v[116:117], v[2:3]
	v_add_f64 v[0:1], v[122:123], v[0:1]
	v_mul_f64 v[122:123], v[174:175], s[6:7]
	v_accvgpr_write_b32 a126, v126
	v_accvgpr_write_b32 a127, v127
	v_fma_f64 v[126:127], s[36:37], v[248:249], v[122:123]
	v_add_f64 v[0:1], v[126:127], v[0:1]
	v_mul_f64 v[126:127], v[180:181], s[10:11]
	v_accvgpr_write_b32 a122, v128
	v_accvgpr_write_b32 a123, v129
	;; [unrolled: 5-line block ×3, first 2 shown]
	v_accvgpr_write_b32 a131, v137
	v_fma_f64 v[136:137], s[24:25], v[130:131], v[128:129]
	v_accvgpr_write_b32 a136, v4
	v_mul_f64 v[4:5], v[102:103], s[52:53]
	v_accvgpr_write_b32 a139, v7
	v_add_f64 v[136:137], v[24:25], v[136:137]
	v_accvgpr_write_b32 a138, v6
	v_fma_f64 v[6:7], s[0:1], v[142:143], v[4:5]
	v_add_f64 v[6:7], v[6:7], v[136:137]
	v_mul_f64 v[136:137], v[110:111], s[38:39]
	v_accvgpr_write_b32 a128, v138
	v_accvgpr_write_b32 a129, v139
	v_fma_f64 v[138:139], s[20:21], v[148:149], v[136:137]
	v_add_f64 v[6:7], v[138:139], v[6:7]
	v_mul_f64 v[138:139], v[114:115], s[50:51]
	v_accvgpr_write_b32 a16, v146
	v_fma_f64 v[146:147], s[14:15], v[156:157], v[138:139]
	v_add_f64 v[6:7], v[146:147], v[6:7]
	v_mul_f64 v[146:147], v[118:119], s[40:41]
	v_accvgpr_write_b32 a141, v9
	v_accvgpr_write_b32 a140, v8
	v_fma_f64 v[8:9], s[18:19], v[164:165], v[146:147]
	v_add_f64 v[6:7], v[8:9], v[6:7]
	v_mul_f64 v[8:9], v[252:253], s[46:47]
	v_mov_b64_e32 v[22:23], v[10:11]
	v_fma_f64 v[10:11], s[6:7], v[170:171], v[8:9]
	v_add_f64 v[6:7], v[10:11], v[6:7]
	v_mul_f64 v[10:11], v[140:141], s[30:31]
	v_accvgpr_write_b32 a134, v152
	v_accvgpr_write_b32 a135, v153
	v_fma_f64 v[152:153], s[10:11], v[178:179], v[10:11]
	v_add_f64 v[6:7], v[152:153], v[6:7]
	v_mul_f64 v[152:153], v[200:201], s[16:17]
	v_accvgpr_write_b32 a132, v154
	v_accvgpr_write_b32 a133, v155
	v_fma_f64 v[154:155], s[26:27], v[182:183], v[152:153]
	v_add_f64 v[16:17], v[154:155], v[0:1]
	v_mul_f64 v[0:1], v[184:185], s[58:59]
	v_fma_f64 v[154:155], s[16:17], v[192:193], v[0:1]
	v_fmac_f64_e32 v[250:251], s[42:43], v[104:105]
	v_add_f64 v[14:15], v[154:155], v[6:7]
	v_fmac_f64_e32 v[120:121], s[52:53], v[106:107]
	v_add_f64 v[6:7], v[26:27], v[250:251]
	v_add_f64 v[6:7], v[120:121], v[6:7]
	v_fmac_f64_e32 v[254:255], s[38:39], v[108:109]
	v_add_f64 v[6:7], v[254:255], v[6:7]
	v_fmac_f64_e32 v[124:125], s[50:51], v[112:113]
	;; [unrolled: 2-line block ×3, first 2 shown]
	v_add_f64 v[2:3], v[2:3], v[6:7]
	v_fma_f64 v[6:7], v[130:131], s[24:25], -v[128:129]
	v_fma_f64 v[4:5], v[142:143], s[0:1], -v[4:5]
	v_add_f64 v[6:7], v[24:25], v[6:7]
	v_add_f64 v[4:5], v[4:5], v[6:7]
	v_fma_f64 v[6:7], v[148:149], s[20:21], -v[136:137]
	v_add_f64 v[4:5], v[6:7], v[4:5]
	v_fma_f64 v[6:7], v[156:157], s[14:15], -v[138:139]
	;; [unrolled: 2-line block ×4, first 2 shown]
	v_fmac_f64_e32 v[122:123], s[46:47], v[248:249]
	v_add_f64 v[4:5], v[6:7], v[4:5]
	v_fma_f64 v[6:7], v[178:179], s[10:11], -v[10:11]
	v_accvgpr_write_b32 a95, v17
	v_add_f64 v[2:3], v[122:123], v[2:3]
	v_fmac_f64_e32 v[126:127], s[30:31], v[132:133]
	v_add_f64 v[4:5], v[6:7], v[4:5]
	v_fma_f64 v[0:1], v[192:193], s[16:17], -v[0:1]
	v_accvgpr_write_b32 a94, v16
	v_accvgpr_write_b32 a93, v15
	;; [unrolled: 1-line block ×3, first 2 shown]
	v_add_f64 v[2:3], v[126:127], v[2:3]
	v_fmac_f64_e32 v[152:153], s[58:59], v[182:183]
	v_add_f64 v[14:15], v[0:1], v[4:5]
	v_mul_f64 v[0:1], v[134:135], s[20:21]
	v_add_f64 v[16:17], v[152:153], v[2:3]
	v_fma_f64 v[2:3], s[44:45], v[104:105], v[0:1]
	v_mul_f64 v[4:5], v[144:145], s[6:7]
	v_add_f64 v[2:3], v[26:27], v[2:3]
	v_fma_f64 v[6:7], s[36:37], v[106:107], v[4:5]
	v_add_f64 v[2:3], v[6:7], v[2:3]
	v_mul_f64 v[6:7], v[150:151], s[16:17]
	v_fma_f64 v[8:9], s[58:59], v[108:109], v[6:7]
	v_add_f64 v[2:3], v[8:9], v[2:3]
	v_mul_f64 v[8:9], v[158:159], s[18:19]
	;; [unrolled: 3-line block ×4, first 2 shown]
	v_fma_f64 v[122:123], s[54:55], v[248:249], v[120:121]
	v_fmac_f64_e32 v[0:1], s[38:39], v[104:105]
	v_add_f64 v[2:3], v[122:123], v[2:3]
	v_mul_f64 v[122:123], v[180:181], s[14:15]
	v_fmac_f64_e32 v[4:5], s[46:47], v[106:107]
	v_add_f64 v[0:1], v[26:27], v[0:1]
	v_fma_f64 v[124:125], s[28:29], v[132:133], v[122:123]
	v_mul_f64 v[126:127], v[100:101], s[38:39]
	v_fmac_f64_e32 v[6:7], s[26:27], v[108:109]
	v_add_f64 v[0:1], v[4:5], v[0:1]
	v_add_f64 v[2:3], v[124:125], v[2:3]
	v_mul_f64 v[124:125], v[102:103], s[46:47]
	v_fma_f64 v[100:101], s[20:21], v[130:131], v[126:127]
	v_add_f64 v[0:1], v[6:7], v[0:1]
	v_fma_f64 v[6:7], v[130:131], s[20:21], -v[126:127]
	v_add_f64 v[100:101], v[24:25], v[100:101]
	v_fma_f64 v[102:103], s[6:7], v[142:143], v[124:125]
	v_mul_f64 v[110:111], v[110:111], s[26:27]
	v_fma_f64 v[4:5], v[142:143], s[6:7], -v[124:125]
	v_add_f64 v[6:7], v[24:25], v[6:7]
	v_add_f64 v[100:101], v[102:103], v[100:101]
	v_fma_f64 v[102:103], s[16:17], v[148:149], v[110:111]
	v_mul_f64 v[114:115], v[114:115], s[56:57]
	v_fmac_f64_e32 v[8:9], s[56:57], v[112:113]
	v_add_f64 v[4:5], v[4:5], v[6:7]
	v_fma_f64 v[6:7], v[148:149], s[16:17], -v[110:111]
	v_mul_f64 v[110:111], v[134:135], s[18:19]
	v_add_f64 v[100:101], v[102:103], v[100:101]
	v_fma_f64 v[102:103], s[18:19], v[156:157], v[114:115]
	v_mul_f64 v[118:119], v[118:119], s[22:23]
	v_fmac_f64_e32 v[10:11], s[22:23], v[116:117]
	v_add_f64 v[0:1], v[8:9], v[0:1]
	v_mul_f64 v[108:109], v[144:145], s[10:11]
	v_add_f64 v[96:97], v[96:97], v[110:111]
	v_add_f64 v[100:101], v[102:103], v[100:101]
	v_fma_f64 v[102:103], s[0:1], v[164:165], v[118:119]
	v_mul_f64 v[128:129], v[252:253], s[42:43]
	v_add_f64 v[0:1], v[10:11], v[0:1]
	v_mul_f64 v[10:11], v[150:151], s[0:1]
	v_add_f64 v[108:109], v[228:229], v[108:109]
	v_add_f64 v[96:97], v[26:27], v[96:97]
	;; [unrolled: 1-line block ×3, first 2 shown]
	v_fma_f64 v[102:103], s[24:25], v[170:171], v[128:129]
	v_mul_f64 v[136:137], v[140:141], s[50:51]
	v_add_f64 v[4:5], v[6:7], v[4:5]
	v_fma_f64 v[6:7], v[156:157], s[18:19], -v[114:115]
	v_mul_f64 v[8:9], v[158:159], s[20:21]
	v_add_f64 v[10:11], v[232:233], v[10:11]
	v_add_f64 v[96:97], v[108:109], v[96:97]
	;; [unrolled: 1-line block ×3, first 2 shown]
	v_fma_f64 v[102:103], s[14:15], v[178:179], v[136:137]
	v_mul_f64 v[138:139], v[200:201], s[10:11]
	v_fmac_f64_e32 v[120:121], s[42:43], v[248:249]
	v_add_f64 v[4:5], v[6:7], v[4:5]
	v_fma_f64 v[6:7], v[164:165], s[0:1], -v[118:119]
	v_add_f64 v[8:9], v[236:237], v[8:9]
	v_add_f64 v[10:11], v[10:11], v[96:97]
	v_mul_f64 v[110:111], v[130:131], s[18:19]
	v_add_f64 v[100:101], v[102:103], v[100:101]
	v_fma_f64 v[102:103], s[48:49], v[182:183], v[138:139]
	v_fmac_f64_e32 v[122:123], s[50:51], v[132:133]
	v_add_f64 v[0:1], v[120:121], v[0:1]
	v_add_f64 v[4:5], v[6:7], v[4:5]
	v_fma_f64 v[6:7], v[170:171], s[24:25], -v[128:129]
	v_add_f64 v[8:9], v[8:9], v[10:11]
	v_mul_f64 v[10:11], v[164:165], s[16:17]
	v_mul_f64 v[108:109], v[142:143], s[10:11]
	v_add_f64 v[110:111], v[110:111], -v[220:221]
	v_add_f64 v[102:103], v[102:103], v[2:3]
	v_mul_f64 v[2:3], v[184:185], s[30:31]
	v_fmac_f64_e32 v[138:139], s[30:31], v[182:183]
	v_add_f64 v[0:1], v[122:123], v[0:1]
	v_add_f64 v[4:5], v[6:7], v[4:5]
	v_fma_f64 v[6:7], v[178:179], s[14:15], -v[136:137]
	v_add_f64 v[10:11], v[10:11], -v[98:99]
	v_mul_f64 v[98:99], v[148:149], s[0:1]
	v_add_f64 v[108:109], v[108:109], -v[222:223]
	v_add_f64 v[110:111], v[24:25], v[110:111]
	v_add_f64 v[4:5], v[6:7], v[4:5]
	;; [unrolled: 1-line block ×3, first 2 shown]
	v_fma_f64 v[0:1], v[192:193], s[10:11], -v[2:3]
	v_mul_f64 v[6:7], v[166:167], s[16:17]
	v_mul_f64 v[96:97], v[156:157], s[20:21]
	v_add_f64 v[98:99], v[98:99], -v[224:225]
	v_add_f64 v[108:109], v[108:109], v[110:111]
	v_add_f64 v[104:105], v[0:1], v[4:5]
	v_mul_f64 v[4:5], v[174:175], s[14:15]
	v_add_f64 v[6:7], v[240:241], v[6:7]
	v_add_f64 v[96:97], v[96:97], -v[226:227]
	v_add_f64 v[98:99], v[98:99], v[108:109]
	v_fma_f64 v[140:141], s[10:11], v[192:193], v[2:3]
	v_mul_f64 v[2:3], v[180:181], s[24:25]
	v_add_f64 v[4:5], v[242:243], v[4:5]
	v_add_f64 v[6:7], v[6:7], v[8:9]
	v_mul_f64 v[8:9], v[170:171], s[14:15]
	v_add_f64 v[96:97], v[96:97], v[98:99]
	v_mul_f64 v[0:1], v[200:201], s[6:7]
	v_add_f64 v[2:3], v[244:245], v[2:3]
	v_add_f64 v[4:5], v[4:5], v[6:7]
	v_mul_f64 v[6:7], v[178:179], s[24:25]
	v_add_f64 v[8:9], v[8:9], -v[230:231]
	v_add_f64 v[10:11], v[10:11], v[96:97]
	v_add_f64 v[0:1], v[246:247], v[0:1]
	;; [unrolled: 1-line block ×3, first 2 shown]
	v_mul_f64 v[4:5], v[192:193], s[6:7]
	v_add_f64 v[6:7], v[6:7], -v[234:235]
	v_add_f64 v[8:9], v[8:9], v[10:11]
	v_add_f64 v[4:5], v[4:5], -v[238:239]
	v_add_f64 v[6:7], v[6:7], v[8:9]
	v_add_f64 v[110:111], v[0:1], v[2:3]
	v_mul_f64 v[2:3], v[180:181], s[0:1]
	v_add_f64 v[108:109], v[4:5], v[6:7]
	v_add_f64 v[2:3], v[94:95], v[2:3]
	v_mul_f64 v[4:5], v[174:175], s[16:17]
	v_mul_f64 v[94:95], v[134:135], s[10:11]
	v_add_f64 v[4:5], v[92:93], v[4:5]
	v_mul_f64 v[92:93], v[144:145], s[20:21]
	v_add_f64 v[94:95], v[198:199], v[94:95]
	v_mul_f64 v[98:99], v[130:131], s[10:11]
	v_mul_f64 v[10:11], v[150:151], s[14:15]
	v_add_f64 v[92:93], v[204:205], v[92:93]
	v_add_f64 v[94:95], v[26:27], v[94:95]
	v_mul_f64 v[96:97], v[142:143], s[20:21]
	v_add_f64 v[98:99], v[98:99], -v[188:189]
	v_mul_f64 v[8:9], v[158:159], s[6:7]
	v_add_f64 v[10:11], v[208:209], v[10:11]
	v_add_f64 v[92:93], v[92:93], v[94:95]
	v_mul_f64 v[94:95], v[148:149], s[14:15]
	v_add_f64 v[96:97], v[96:97], -v[190:191]
	v_add_f64 v[98:99], v[24:25], v[98:99]
	v_mul_f64 v[6:7], v[166:167], s[24:25]
	v_add_f64 v[8:9], v[212:213], v[8:9]
	v_add_f64 v[10:11], v[10:11], v[92:93]
	v_mul_f64 v[92:93], v[156:157], s[6:7]
	v_add_f64 v[94:95], v[94:95], -v[194:195]
	v_add_f64 v[96:97], v[96:97], v[98:99]
	v_add_f64 v[6:7], v[216:217], v[6:7]
	;; [unrolled: 1-line block ×3, first 2 shown]
	v_mul_f64 v[10:11], v[164:165], s[24:25]
	v_add_f64 v[92:93], v[92:93], -v[196:197]
	v_add_f64 v[94:95], v[94:95], v[96:97]
	v_add_f64 v[6:7], v[6:7], v[8:9]
	v_mul_f64 v[8:9], v[170:171], s[16:17]
	v_add_f64 v[10:11], v[10:11], -v[202:203]
	v_add_f64 v[92:93], v[92:93], v[94:95]
	v_add_f64 v[4:5], v[4:5], v[6:7]
	v_mul_f64 v[6:7], v[178:179], s[0:1]
	v_add_f64 v[8:9], v[8:9], -v[206:207]
	v_add_f64 v[10:11], v[10:11], v[92:93]
	v_add_f64 v[6:7], v[6:7], -v[210:211]
	v_add_f64 v[8:9], v[8:9], v[10:11]
	v_accvgpr_read_b32 v10, a118
	v_mov_b32_e32 v255, v13
	v_mov_b32_e32 v254, v12
	v_add_f64 v[6:7], v[6:7], v[8:9]
	v_mul_f64 v[8:9], v[158:159], s[0:1]
	v_accvgpr_read_b32 v11, a119
	v_accvgpr_read_b32 v12, a112
	v_add_f64 v[8:9], v[10:11], v[8:9]
	v_mul_f64 v[10:11], v[150:151], s[10:11]
	v_accvgpr_read_b32 v13, a113
	v_add_f64 v[10:11], v[12:13], v[10:11]
	v_accvgpr_read_b32 v12, a108
	v_mul_f64 v[92:93], v[144:145], s[24:25]
	v_accvgpr_read_b32 v13, a109
	v_add_f64 v[92:93], v[12:13], v[92:93]
	v_accvgpr_read_b32 v12, a104
	v_mul_f64 v[94:95], v[134:135], s[16:17]
	v_accvgpr_read_b32 v13, a105
	v_add_f64 v[94:95], v[12:13], v[94:95]
	v_add_f64 v[2:3], v[2:3], v[4:5]
	v_mul_f64 v[4:5], v[192:193], s[18:19]
	v_add_f64 v[94:95], v[26:27], v[94:95]
	v_add_f64 v[4:5], v[4:5], -v[214:215]
	v_add_f64 v[92:93], v[92:93], v[94:95]
	v_add_f64 v[112:113], v[4:5], v[6:7]
	v_mul_f64 v[6:7], v[166:167], s[6:7]
	v_add_f64 v[10:11], v[10:11], v[92:93]
	v_mul_f64 v[4:5], v[174:175], s[20:21]
	v_add_f64 v[6:7], v[168:169], v[6:7]
	v_add_f64 v[8:9], v[8:9], v[10:11]
	;; [unrolled: 1-line block ×4, first 2 shown]
	v_accvgpr_read_b32 v8, a116
	v_add_f64 v[4:5], v[4:5], v[6:7]
	v_mul_f64 v[6:7], v[178:179], s[18:19]
	v_accvgpr_read_b32 v9, a117
	v_accvgpr_read_b32 v10, a110
	v_add_f64 v[6:7], v[6:7], -v[8:9]
	v_mul_f64 v[8:9], v[170:171], s[20:21]
	v_accvgpr_read_b32 v11, a111
	v_accvgpr_read_b32 v12, a106
	v_add_f64 v[8:9], v[8:9], -v[10:11]
	v_mul_f64 v[10:11], v[164:165], s[6:7]
	v_accvgpr_read_b32 v13, a107
	v_add_f64 v[10:11], v[10:11], -v[12:13]
	v_accvgpr_read_b32 v12, a102
	v_mul_f64 v[92:93], v[156:157], s[0:1]
	v_accvgpr_read_b32 v13, a103
	v_add_f64 v[92:93], v[92:93], -v[12:13]
	v_accvgpr_read_b32 v12, a100
	;; [unrolled: 4-line block ×3, first 2 shown]
	v_mul_f64 v[98:99], v[130:131], s[16:17]
	v_mul_f64 v[96:97], v[142:143], s[24:25]
	v_accvgpr_read_b32 v13, a91
	v_add_f64 v[98:99], v[98:99], -v[22:23]
	v_add_f64 v[96:97], v[96:97], -v[12:13]
	v_add_f64 v[98:99], v[24:25], v[98:99]
	v_mul_f64 v[0:1], v[200:201], s[18:19]
	v_add_f64 v[96:97], v[96:97], v[98:99]
	v_add_f64 v[0:1], v[218:219], v[0:1]
	;; [unrolled: 1-line block ×4, first 2 shown]
	v_mul_f64 v[2:3], v[180:181], s[18:19]
	v_add_f64 v[92:93], v[92:93], v[94:95]
	v_mul_f64 v[0:1], v[200:201], s[14:15]
	v_add_f64 v[2:3], v[176:177], v[2:3]
	v_add_f64 v[10:11], v[10:11], v[92:93]
	;; [unrolled: 1-line block ×4, first 2 shown]
	v_mul_f64 v[4:5], v[192:193], s[14:15]
	v_add_f64 v[8:9], v[8:9], v[10:11]
	v_add_f64 v[4:5], v[4:5], -v[162:163]
	v_add_f64 v[6:7], v[6:7], v[8:9]
	v_add_f64 v[118:119], v[0:1], v[2:3]
	v_accvgpr_read_b32 v2, a140
	v_add_f64 v[116:117], v[4:5], v[6:7]
	v_mul_f64 v[0:1], v[200:201], s[20:21]
	v_accvgpr_read_b32 v3, a141
	v_accvgpr_read_b32 v4, a88
	v_add_f64 v[0:1], v[2:3], v[0:1]
	v_mul_f64 v[2:3], v[180:181], s[16:17]
	v_accvgpr_read_b32 v5, a89
	;; [unrolled: 4-line block ×6, first 2 shown]
	v_add_f64 v[10:11], v[12:13], v[10:11]
	v_accvgpr_read_b32 v12, a76
	v_mul_f64 v[92:93], v[144:145], s[18:19]
	v_accvgpr_read_b32 v13, a77
	v_add_f64 v[92:93], v[12:13], v[92:93]
	v_accvgpr_read_b32 v12, a74
	v_mul_f64 v[94:95], v[134:135], s[6:7]
	v_accvgpr_read_b32 v13, a75
	v_add_f64 v[94:95], v[12:13], v[94:95]
	v_add_f64 v[94:95], v[26:27], v[94:95]
	;; [unrolled: 1-line block ×7, first 2 shown]
	v_accvgpr_read_b32 v12, a78
	v_add_f64 v[2:3], v[2:3], v[4:5]
	v_mul_f64 v[4:5], v[192:193], s[20:21]
	v_accvgpr_read_b32 v13, a79
	v_add_f64 v[4:5], v[4:5], -v[12:13]
	v_accvgpr_read_b32 v12, a72
	v_mul_f64 v[126:127], v[178:179], s[16:17]
	v_accvgpr_read_b32 v13, a73
	v_add_f64 v[126:127], v[126:127], -v[12:13]
	v_accvgpr_read_b32 v12, a70
	;; [unrolled: 4-line block ×3, first 2 shown]
	v_mul_f64 v[120:121], v[130:131], s[0:1]
	v_mul_f64 v[96:97], v[130:131], s[14:15]
	v_mul_f64 v[92:93], v[130:131], s[6:7]
	v_mul_f64 v[130:131], v[164:165], s[14:15]
	v_accvgpr_read_b32 v13, a69
	v_add_f64 v[130:131], v[130:131], -v[12:13]
	v_accvgpr_read_b32 v12, a66
	v_mul_f64 v[132:133], v[156:157], s[10:11]
	v_accvgpr_read_b32 v13, a67
	v_add_f64 v[132:133], v[132:133], -v[12:13]
	v_accvgpr_read_b32 v12, a64
	v_mul_f64 v[122:123], v[134:135], s[0:1]
	v_mul_f64 v[98:99], v[134:135], s[14:15]
	;; [unrolled: 1-line block ×3, first 2 shown]
	v_accvgpr_read_b32 v13, a65
	v_add_f64 v[134:135], v[134:135], -v[12:13]
	v_accvgpr_read_b32 v12, a62
	v_mul_f64 v[94:95], v[142:143], s[18:19]
	v_accvgpr_read_b32 v13, a63
	v_add_f64 v[94:95], v[94:95], -v[12:13]
	v_accvgpr_read_b32 v12, a138
	v_accvgpr_read_b32 v13, a139
	v_add_f64 v[92:93], v[92:93], -v[12:13]
	v_add_f64 v[92:93], v[24:25], v[92:93]
	v_add_f64 v[92:93], v[94:95], v[92:93]
	;; [unrolled: 1-line block ×5, first 2 shown]
	v_accvgpr_read_b32 v12, a136
	v_add_f64 v[92:93], v[128:129], v[92:93]
	v_mul_f64 v[162:163], v[200:201], s[0:1]
	v_accvgpr_read_b32 v13, a137
	v_add_f64 v[92:93], v[126:127], v[92:93]
	v_add_f64 v[162:163], v[12:13], v[162:163]
	v_accvgpr_read_b32 v12, a60
	v_add_f64 v[92:93], v[4:5], v[92:93]
	v_mul_f64 v[4:5], v[180:181], s[6:7]
	v_accvgpr_read_b32 v13, a61
	v_add_f64 v[4:5], v[12:13], v[4:5]
	v_accvgpr_read_b32 v12, a58
	v_mul_f64 v[10:11], v[142:143], s[14:15]
	v_mul_f64 v[6:7], v[142:143], s[16:17]
	;; [unrolled: 1-line block ×7, first 2 shown]
	v_accvgpr_read_b32 v13, a59
	v_add_f64 v[158:159], v[12:13], v[158:159]
	v_accvgpr_read_b32 v12, a54
	v_mul_f64 v[154:155], v[166:167], s[20:21]
	v_accvgpr_read_b32 v13, a55
	v_add_f64 v[154:155], v[12:13], v[154:155]
	v_accvgpr_read_b32 v12, a50
	v_accvgpr_read_b32 v13, a51
	v_add_f64 v[150:151], v[12:13], v[150:151]
	v_accvgpr_read_b32 v12, a46
	v_accvgpr_read_b32 v13, a47
	v_add_f64 v[142:143], v[12:13], v[142:143]
	v_accvgpr_read_b32 v12, a42
	v_mul_f64 v[124:125], v[144:145], s[16:17]
	v_accvgpr_read_b32 v13, a43
	v_add_f64 v[124:125], v[12:13], v[124:125]
	v_accvgpr_read_b32 v12, a40
	v_accvgpr_read_b32 v13, a41
	v_add_f64 v[98:99], v[12:13], v[98:99]
	v_accvgpr_read_b32 v12, a52
	v_add_f64 v[94:95], v[0:1], v[2:3]
	v_mul_f64 v[2:3], v[178:179], s[6:7]
	v_accvgpr_read_b32 v13, a53
	v_add_f64 v[2:3], v[2:3], -v[12:13]
	v_accvgpr_read_b32 v12, a48
	v_add_f64 v[100:101], v[140:141], v[100:101]
	v_mul_f64 v[8:9], v[144:145], s[14:15]
	v_mul_f64 v[136:137], v[148:149], s[6:7]
	;; [unrolled: 1-line block ×6, first 2 shown]
	v_add_f64 v[98:99], v[26:27], v[98:99]
	v_accvgpr_read_b32 v13, a49
	v_add_f64 v[98:99], v[124:125], v[98:99]
	v_add_f64 v[124:125], v[156:157], -v[12:13]
	v_accvgpr_read_b32 v12, a44
	v_mul_f64 v[152:153], v[164:165], s[20:21]
	v_accvgpr_read_b32 v13, a45
	v_add_f64 v[98:99], v[142:143], v[98:99]
	v_add_f64 v[142:143], v[152:153], -v[12:13]
	v_accvgpr_read_b32 v12, a38
	v_accvgpr_read_b32 v13, a39
	v_add_f64 v[148:149], v[148:149], -v[12:13]
	v_accvgpr_read_b32 v12, a36
	v_accvgpr_read_b32 v13, a37
	v_add_f64 v[140:141], v[140:141], -v[12:13]
	v_accvgpr_read_b32 v12, a34
	v_accvgpr_read_b32 v13, a35
	v_add_f64 v[6:7], v[6:7], -v[12:13]
	v_accvgpr_read_b32 v12, a32
	v_accvgpr_read_b32 v13, a33
	v_add_f64 v[96:97], v[96:97], -v[12:13]
	v_add_f64 v[98:99], v[150:151], v[98:99]
	v_add_f64 v[96:97], v[24:25], v[96:97]
	v_add_f64 v[98:99], v[154:155], v[98:99]
	v_add_f64 v[6:7], v[6:7], v[96:97]
	v_add_f64 v[98:99], v[158:159], v[98:99]
	v_add_f64 v[6:7], v[140:141], v[6:7]
	v_add_f64 v[4:5], v[4:5], v[98:99]
	v_add_f64 v[6:7], v[148:149], v[6:7]
	v_add_f64 v[98:99], v[162:163], v[4:5]
	v_accvgpr_read_b32 v4, a56
	v_add_f64 v[6:7], v[142:143], v[6:7]
	v_mul_f64 v[168:169], v[192:193], s[0:1]
	v_accvgpr_read_b32 v5, a57
	v_add_f64 v[6:7], v[124:125], v[6:7]
	v_add_f64 v[4:5], v[168:169], -v[4:5]
	v_add_f64 v[2:3], v[2:3], v[6:7]
	v_add_f64 v[96:97], v[4:5], v[2:3]
	v_accvgpr_read_b32 v4, a26
	v_accvgpr_read_b32 v12, a134
	v_mul_f64 v[0:1], v[180:181], s[20:21]
	v_accvgpr_read_b32 v5, a27
	v_accvgpr_read_b32 v13, a135
	v_add_f64 v[0:1], v[4:5], v[0:1]
	v_accvgpr_read_b32 v4, a22
	v_add_f64 v[124:125], v[12:13], v[146:147]
	v_accvgpr_read_b32 v12, a130
	v_mul_f64 v[128:129], v[174:175], s[18:19]
	v_accvgpr_read_b32 v5, a23
	v_accvgpr_read_b32 v13, a131
	v_add_f64 v[4:5], v[4:5], v[128:129]
	v_add_f64 v[128:129], v[12:13], v[138:139]
	v_accvgpr_read_b32 v12, a126
	v_accvgpr_read_b32 v13, a127
	v_add_f64 v[8:9], v[12:13], v[8:9]
	v_accvgpr_read_b32 v12, a124
	v_accvgpr_read_b32 v13, a125
	v_add_f64 v[122:123], v[12:13], v[122:123]
	v_add_f64 v[122:123], v[26:27], v[122:123]
	;; [unrolled: 1-line block ×3, first 2 shown]
	v_accvgpr_read_b32 v12, a122
	v_add_f64 v[8:9], v[128:129], v[8:9]
	v_accvgpr_read_b32 v13, a123
	v_add_f64 v[8:9], v[124:125], v[8:9]
	v_add_f64 v[124:125], v[136:137], -v[12:13]
	v_accvgpr_read_b32 v12, a120
	v_accvgpr_read_b32 v13, a121
	;; [unrolled: 1-line block ×3, first 2 shown]
	v_add_f64 v[10:11], v[10:11], -v[12:13]
	v_accvgpr_read_b32 v12, a114
	v_mul_f64 v[132:133], v[166:167], s[10:11]
	v_accvgpr_read_b32 v7, a19
	v_accvgpr_read_b32 v13, a115
	v_add_f64 v[6:7], v[6:7], v[132:133]
	v_add_f64 v[120:121], v[120:121], -v[12:13]
	v_accvgpr_read_b32 v2, a30
	v_add_f64 v[6:7], v[6:7], v[8:9]
	v_accvgpr_read_b32 v8, a128
	v_add_f64 v[120:121], v[24:25], v[120:121]
	v_mul_f64 v[166:167], v[200:201], s[24:25]
	v_accvgpr_read_b32 v3, a31
	v_add_f64 v[4:5], v[4:5], v[6:7]
	v_accvgpr_read_b32 v6, a132
	v_accvgpr_read_b32 v9, a129
	v_add_f64 v[10:11], v[10:11], v[120:121]
	v_mul_f64 v[134:135], v[164:165], s[10:11]
	v_add_f64 v[2:3], v[2:3], v[166:167]
	v_add_f64 v[0:1], v[0:1], v[4:5]
	v_accvgpr_read_b32 v4, a20
	v_accvgpr_read_b32 v7, a133
	v_add_f64 v[8:9], v[144:145], -v[8:9]
	v_add_f64 v[10:11], v[124:125], v[10:11]
	v_mul_f64 v[130:131], v[170:171], s[18:19]
	v_add_f64 v[122:123], v[2:3], v[0:1]
	v_accvgpr_read_b32 v2, a24
	v_accvgpr_read_b32 v5, a21
	v_add_f64 v[6:7], v[134:135], -v[6:7]
	v_add_f64 v[8:9], v[8:9], v[10:11]
	v_mul_f64 v[126:127], v[178:179], s[20:21]
	v_accvgpr_read_b32 v0, a28
	v_accvgpr_read_b32 v3, a25
	v_add_f64 v[4:5], v[130:131], -v[4:5]
	v_add_f64 v[6:7], v[6:7], v[8:9]
	v_mul_f64 v[164:165], v[192:193], s[24:25]
	v_accvgpr_read_b32 v1, a29
	v_add_f64 v[2:3], v[126:127], -v[2:3]
	v_add_f64 v[4:5], v[4:5], v[6:7]
	v_add_f64 v[0:1], v[164:165], -v[0:1]
	v_add_f64 v[2:3], v[2:3], v[4:5]
	v_add_f64 v[120:121], v[0:1], v[2:3]
	;; [unrolled: 1-line block ×33, first 2 shown]
	v_accvgpr_read_b32 v146, a16
	v_add_f64 v[24:25], v[0:1], v[88:89]
	v_mul_lo_u16_e32 v0, 17, v254
	v_add_lshl_u32 v0, v146, v0, 4
	ds_write_b128 v0, v[24:27]
	ds_write_b128 v0, v[120:123] offset:16
	ds_write_b128 v0, v[96:99] offset:32
	;; [unrolled: 1-line block ×16, first 2 shown]
.LBB0_7:
	s_or_b64 exec, exec, s[34:35]
	v_mul_u32_u24_e32 v0, 10, v254
	v_lshlrev_b32_e32 v0, 4, v0
	s_load_dwordx4 s[0:3], s[2:3], 0x0
	s_waitcnt lgkmcnt(0)
	s_barrier
	global_load_dwordx4 v[34:37], v0, s[4:5]
	global_load_dwordx4 v[30:33], v0, s[4:5] offset:16
	global_load_dwordx4 v[26:29], v0, s[4:5] offset:32
	;; [unrolled: 1-line block ×9, first 2 shown]
	v_add_lshl_u32 v227, v146, v254, 4
	ds_read_b128 v[84:87], v227
	ds_read_b128 v[64:67], v227 offset:272
	ds_read_b128 v[72:75], v227 offset:544
	ds_read_b128 v[80:83], v227 offset:816
	ds_read_b128 v[88:91], v227 offset:1088
	ds_read_b128 v[92:95], v227 offset:1360
	ds_read_b128 v[96:99], v227 offset:1632
	ds_read_b128 v[100:103], v227 offset:1904
	ds_read_b128 v[104:107], v227 offset:2176
	ds_read_b128 v[108:111], v227 offset:2448
	ds_read_b128 v[112:115], v227 offset:2720
	s_mov_b32 s10, 0xf8bb580b
	s_mov_b32 s16, 0x43842ef
	;; [unrolled: 1-line block ×26, first 2 shown]
	v_lshl_add_u32 v226, v254, 4, v255
	s_waitcnt vmcnt(9) lgkmcnt(9)
	v_mul_f64 v[0:1], v[66:67], v[36:37]
	v_mul_f64 v[2:3], v[64:65], v[36:37]
	s_waitcnt vmcnt(8) lgkmcnt(8)
	v_mul_f64 v[4:5], v[74:75], v[32:33]
	v_mul_f64 v[6:7], v[72:73], v[32:33]
	s_waitcnt vmcnt(5) lgkmcnt(5)
	v_mul_f64 v[118:119], v[94:95], v[54:55]
	v_fma_f64 v[0:1], v[64:65], v[34:35], -v[0:1]
	v_fmac_f64_e32 v[2:3], v[66:67], v[34:35]
	v_mul_f64 v[8:9], v[82:83], v[28:29]
	v_mul_f64 v[10:11], v[80:81], v[28:29]
	;; [unrolled: 1-line block ×3, first 2 shown]
	v_fma_f64 v[4:5], v[72:73], v[30:31], -v[4:5]
	v_fmac_f64_e32 v[6:7], v[74:75], v[30:31]
	v_fma_f64 v[72:73], v[92:93], v[52:53], -v[118:119]
	v_add_f64 v[66:67], v[84:85], v[0:1]
	v_add_f64 v[92:93], v[86:87], v[2:3]
	v_mul_f64 v[116:117], v[90:91], v[24:25]
	v_mul_f64 v[76:77], v[88:89], v[24:25]
	v_fma_f64 v[8:9], v[80:81], v[26:27], -v[8:9]
	v_fmac_f64_e32 v[10:11], v[82:83], v[26:27]
	v_add_f64 v[66:67], v[66:67], v[4:5]
	v_add_f64 v[92:93], v[92:93], v[6:7]
	v_fma_f64 v[80:81], v[88:89], v[22:23], -v[116:117]
	v_fmac_f64_e32 v[76:77], v[90:91], v[22:23]
	v_add_f64 v[66:67], v[66:67], v[8:9]
	v_add_f64 v[92:93], v[92:93], v[10:11]
	s_waitcnt vmcnt(4) lgkmcnt(4)
	v_mul_f64 v[120:121], v[98:99], v[50:51]
	v_mul_f64 v[70:71], v[96:97], v[50:51]
	v_fmac_f64_e32 v[68:69], v[94:95], v[52:53]
	v_add_f64 v[66:67], v[66:67], v[80:81]
	v_add_f64 v[92:93], v[92:93], v[76:77]
	s_waitcnt vmcnt(3) lgkmcnt(3)
	v_mul_f64 v[122:123], v[102:103], v[46:47]
	v_mul_f64 v[78:79], v[100:101], v[46:47]
	v_fma_f64 v[74:75], v[96:97], v[48:49], -v[120:121]
	v_fmac_f64_e32 v[70:71], v[98:99], v[48:49]
	v_add_f64 v[66:67], v[66:67], v[72:73]
	v_add_f64 v[92:93], v[92:93], v[68:69]
	s_waitcnt vmcnt(2) lgkmcnt(2)
	v_mul_f64 v[124:125], v[106:107], v[42:43]
	v_mul_f64 v[126:127], v[104:105], v[42:43]
	s_waitcnt vmcnt(0) lgkmcnt(0)
	v_mul_f64 v[132:133], v[114:115], v[58:59]
	v_fma_f64 v[82:83], v[100:101], v[44:45], -v[122:123]
	v_fmac_f64_e32 v[78:79], v[102:103], v[44:45]
	v_add_f64 v[66:67], v[66:67], v[74:75]
	v_add_f64 v[92:93], v[92:93], v[70:71]
	v_mul_f64 v[128:129], v[110:111], v[62:63]
	v_mul_f64 v[130:131], v[108:109], v[62:63]
	;; [unrolled: 1-line block ×3, first 2 shown]
	v_fma_f64 v[88:89], v[104:105], v[40:41], -v[124:125]
	v_fmac_f64_e32 v[126:127], v[106:107], v[40:41]
	v_fma_f64 v[64:65], v[112:113], v[56:57], -v[132:133]
	v_add_f64 v[66:67], v[66:67], v[82:83]
	v_add_f64 v[92:93], v[92:93], v[78:79]
	v_fma_f64 v[90:91], v[108:109], v[60:61], -v[128:129]
	v_fmac_f64_e32 v[130:131], v[110:111], v[60:61]
	v_fmac_f64_e32 v[134:135], v[114:115], v[56:57]
	v_add_f64 v[94:95], v[0:1], v[64:65]
	v_add_f64 v[0:1], v[0:1], -v[64:65]
	v_add_f64 v[66:67], v[66:67], v[88:89]
	v_add_f64 v[92:93], v[92:93], v[126:127]
	;; [unrolled: 1-line block ×3, first 2 shown]
	v_add_f64 v[2:3], v[2:3], -v[134:135]
	v_add_f64 v[66:67], v[66:67], v[90:91]
	v_add_f64 v[92:93], v[92:93], v[130:131]
	v_mul_f64 v[100:101], v[0:1], s[10:11]
	v_mul_f64 v[108:109], v[0:1], s[14:15]
	;; [unrolled: 1-line block ×5, first 2 shown]
	v_add_f64 v[64:65], v[66:67], v[64:65]
	v_add_f64 v[66:67], v[92:93], v[134:135]
	v_mul_f64 v[92:93], v[2:3], s[10:11]
	v_fma_f64 v[102:103], s[18:19], v[96:97], v[100:101]
	v_fma_f64 v[100:101], v[96:97], s[18:19], -v[100:101]
	v_mul_f64 v[104:105], v[2:3], s[14:15]
	v_fma_f64 v[110:111], s[4:5], v[96:97], v[108:109]
	v_fma_f64 v[108:109], v[96:97], s[4:5], -v[108:109]
	;; [unrolled: 3-line block ×5, first 2 shown]
	v_fma_f64 v[98:99], v[94:95], s[18:19], -v[92:93]
	v_add_f64 v[102:103], v[86:87], v[102:103]
	v_fmac_f64_e32 v[92:93], s[18:19], v[94:95]
	v_add_f64 v[100:101], v[86:87], v[100:101]
	v_fma_f64 v[106:107], v[94:95], s[4:5], -v[104:105]
	v_add_f64 v[110:111], v[86:87], v[110:111]
	v_fmac_f64_e32 v[104:105], s[4:5], v[94:95]
	v_add_f64 v[108:109], v[86:87], v[108:109]
	;; [unrolled: 4-line block ×5, first 2 shown]
	v_add_f64 v[86:87], v[6:7], v[130:131]
	v_add_f64 v[6:7], v[6:7], -v[130:131]
	v_add_f64 v[98:99], v[84:85], v[98:99]
	v_add_f64 v[92:93], v[84:85], v[92:93]
	;; [unrolled: 1-line block ×11, first 2 shown]
	v_add_f64 v[4:5], v[4:5], -v[90:91]
	v_mul_f64 v[90:91], v[6:7], s[14:15]
	v_fma_f64 v[94:95], v[84:85], s[4:5], -v[90:91]
	v_mul_f64 v[96:97], v[4:5], s[14:15]
	v_fmac_f64_e32 v[90:91], s[4:5], v[84:85]
	v_add_f64 v[94:95], v[94:95], v[98:99]
	v_fma_f64 v[98:99], s[4:5], v[86:87], v[96:97]
	v_add_f64 v[90:91], v[90:91], v[92:93]
	v_fma_f64 v[92:93], v[86:87], s[4:5], -v[96:97]
	v_mul_f64 v[96:97], v[6:7], s[22:23]
	v_add_f64 v[98:99], v[98:99], v[102:103]
	v_add_f64 v[92:93], v[92:93], v[100:101]
	v_fma_f64 v[100:101], v[84:85], s[20:21], -v[96:97]
	v_mul_f64 v[102:103], v[4:5], s[22:23]
	v_fmac_f64_e32 v[96:97], s[20:21], v[84:85]
	v_add_f64 v[100:101], v[100:101], v[106:107]
	v_fma_f64 v[106:107], s[20:21], v[86:87], v[102:103]
	v_add_f64 v[96:97], v[96:97], v[104:105]
	v_fma_f64 v[102:103], v[86:87], s[20:21], -v[102:103]
	v_mul_f64 v[104:105], v[6:7], s[34:35]
	v_add_f64 v[106:107], v[106:107], v[110:111]
	v_add_f64 v[102:103], v[102:103], v[108:109]
	;; [unrolled: 10-line block ×3, first 2 shown]
	v_fma_f64 v[116:117], v[84:85], s[6:7], -v[112:113]
	v_mul_f64 v[118:119], v[4:5], s[30:31]
	v_fmac_f64_e32 v[112:113], s[6:7], v[84:85]
	v_mul_f64 v[6:7], v[6:7], s[28:29]
	v_add_f64 v[116:117], v[116:117], v[122:123]
	v_fma_f64 v[122:123], s[6:7], v[86:87], v[118:119]
	v_add_f64 v[112:113], v[112:113], v[120:121]
	v_fma_f64 v[118:119], v[86:87], s[6:7], -v[118:119]
	v_fma_f64 v[120:121], v[84:85], s[18:19], -v[6:7]
	v_mul_f64 v[4:5], v[4:5], s[28:29]
	v_fmac_f64_e32 v[6:7], s[18:19], v[84:85]
	v_add_f64 v[118:119], v[118:119], v[124:125]
	v_fma_f64 v[124:125], s[18:19], v[86:87], v[4:5]
	v_add_f64 v[2:3], v[6:7], v[2:3]
	v_fma_f64 v[4:5], v[86:87], s[18:19], -v[4:5]
	v_add_f64 v[6:7], v[10:11], v[126:127]
	v_add_f64 v[10:11], v[10:11], -v[126:127]
	v_add_f64 v[0:1], v[4:5], v[0:1]
	v_add_f64 v[4:5], v[8:9], v[88:89]
	v_add_f64 v[8:9], v[8:9], -v[88:89]
	v_mul_f64 v[84:85], v[10:11], s[16:17]
	v_fma_f64 v[86:87], v[4:5], s[6:7], -v[84:85]
	v_mul_f64 v[88:89], v[8:9], s[16:17]
	v_fmac_f64_e32 v[84:85], s[6:7], v[4:5]
	v_add_f64 v[86:87], v[86:87], v[94:95]
	v_fma_f64 v[94:95], s[6:7], v[6:7], v[88:89]
	v_add_f64 v[84:85], v[84:85], v[90:91]
	v_fma_f64 v[88:89], v[6:7], s[6:7], -v[88:89]
	v_mul_f64 v[90:91], v[10:11], s[34:35]
	v_add_f64 v[94:95], v[94:95], v[98:99]
	v_add_f64 v[88:89], v[88:89], v[92:93]
	v_fma_f64 v[92:93], v[4:5], s[24:25], -v[90:91]
	v_mul_f64 v[98:99], v[8:9], s[34:35]
	v_fmac_f64_e32 v[90:91], s[24:25], v[4:5]
	s_mov_b32 s15, 0x3fed1bb4
	v_add_f64 v[92:93], v[92:93], v[100:101]
	v_fma_f64 v[100:101], s[24:25], v[6:7], v[98:99]
	v_add_f64 v[90:91], v[90:91], v[96:97]
	v_fma_f64 v[96:97], v[6:7], s[24:25], -v[98:99]
	v_mul_f64 v[98:99], v[10:11], s[14:15]
	v_add_f64 v[100:101], v[100:101], v[106:107]
	v_add_f64 v[96:97], v[96:97], v[102:103]
	v_fma_f64 v[102:103], v[4:5], s[4:5], -v[98:99]
	v_mul_f64 v[106:107], v[8:9], s[14:15]
	v_fmac_f64_e32 v[98:99], s[4:5], v[4:5]
	v_add_f64 v[102:103], v[102:103], v[108:109]
	v_fma_f64 v[108:109], s[4:5], v[6:7], v[106:107]
	v_add_f64 v[98:99], v[98:99], v[104:105]
	v_fma_f64 v[104:105], v[6:7], s[4:5], -v[106:107]
	v_mul_f64 v[106:107], v[10:11], s[10:11]
	v_add_f64 v[108:109], v[108:109], v[114:115]
	v_add_f64 v[104:105], v[104:105], v[110:111]
	v_fma_f64 v[110:111], v[4:5], s[18:19], -v[106:107]
	v_mul_f64 v[114:115], v[8:9], s[10:11]
	v_fmac_f64_e32 v[106:107], s[18:19], v[4:5]
	v_mul_f64 v[10:11], v[10:11], s[22:23]
	v_add_f64 v[110:111], v[110:111], v[116:117]
	v_fma_f64 v[116:117], s[18:19], v[6:7], v[114:115]
	v_add_f64 v[106:107], v[106:107], v[112:113]
	v_fma_f64 v[112:113], v[6:7], s[18:19], -v[114:115]
	v_fma_f64 v[114:115], v[4:5], s[20:21], -v[10:11]
	v_mul_f64 v[8:9], v[8:9], s[22:23]
	v_fmac_f64_e32 v[10:11], s[20:21], v[4:5]
	v_add_f64 v[2:3], v[10:11], v[2:3]
	v_fma_f64 v[4:5], v[6:7], s[20:21], -v[8:9]
	v_add_f64 v[10:11], v[76:77], -v[78:79]
	v_add_f64 v[112:113], v[112:113], v[118:119]
	v_fma_f64 v[118:119], s[20:21], v[6:7], v[8:9]
	v_add_f64 v[0:1], v[4:5], v[0:1]
	v_add_f64 v[4:5], v[80:81], v[82:83]
	;; [unrolled: 1-line block ×3, first 2 shown]
	v_mul_f64 v[76:77], v[10:11], s[22:23]
	v_add_f64 v[8:9], v[80:81], -v[82:83]
	v_fma_f64 v[78:79], v[4:5], s[20:21], -v[76:77]
	v_fmac_f64_e32 v[76:77], s[20:21], v[4:5]
	v_mul_f64 v[80:81], v[8:9], s[22:23]
	v_add_f64 v[76:77], v[76:77], v[84:85]
	v_mul_f64 v[84:85], v[10:11], s[30:31]
	v_add_f64 v[78:79], v[78:79], v[86:87]
	v_fma_f64 v[82:83], s[20:21], v[6:7], v[80:81]
	v_fma_f64 v[80:81], v[6:7], s[20:21], -v[80:81]
	v_fma_f64 v[86:87], v[4:5], s[6:7], -v[84:85]
	v_add_f64 v[80:81], v[80:81], v[88:89]
	v_add_f64 v[88:89], v[86:87], v[92:93]
	v_mul_f64 v[86:87], v[8:9], s[30:31]
	v_fmac_f64_e32 v[84:85], s[6:7], v[4:5]
	v_add_f64 v[90:91], v[84:85], v[90:91]
	v_fma_f64 v[84:85], v[6:7], s[6:7], -v[86:87]
	v_add_f64 v[82:83], v[82:83], v[94:95]
	v_add_f64 v[94:95], v[84:85], v[96:97]
	v_mul_f64 v[84:85], v[10:11], s[10:11]
	v_fma_f64 v[92:93], s[6:7], v[6:7], v[86:87]
	v_fma_f64 v[86:87], v[4:5], s[18:19], -v[84:85]
	v_add_f64 v[96:97], v[86:87], v[102:103]
	v_mul_f64 v[86:87], v[8:9], s[10:11]
	v_fmac_f64_e32 v[84:85], s[18:19], v[4:5]
	v_add_f64 v[98:99], v[84:85], v[98:99]
	v_fma_f64 v[84:85], v[6:7], s[18:19], -v[86:87]
	v_add_f64 v[102:103], v[84:85], v[104:105]
	v_mul_f64 v[84:85], v[10:11], s[26:27]
	v_add_f64 v[92:93], v[92:93], v[100:101]
	v_fma_f64 v[100:101], s[18:19], v[6:7], v[86:87]
	v_fma_f64 v[86:87], v[4:5], s[24:25], -v[84:85]
	v_add_f64 v[104:105], v[86:87], v[110:111]
	v_mul_f64 v[86:87], v[8:9], s[26:27]
	v_fmac_f64_e32 v[84:85], s[24:25], v[4:5]
	v_add_f64 v[106:107], v[84:85], v[106:107]
	v_fma_f64 v[84:85], v[6:7], s[24:25], -v[86:87]
	v_mul_f64 v[10:11], v[10:11], s[14:15]
	v_add_f64 v[120:121], v[120:121], v[132:133]
	v_add_f64 v[110:111], v[84:85], v[112:113]
	v_fma_f64 v[84:85], v[4:5], s[4:5], -v[10:11]
	v_mul_f64 v[8:9], v[8:9], s[14:15]
	v_fmac_f64_e32 v[10:11], s[4:5], v[4:5]
	v_add_f64 v[114:115], v[114:115], v[120:121]
	v_add_f64 v[2:3], v[10:11], v[2:3]
	v_fma_f64 v[4:5], v[6:7], s[4:5], -v[8:9]
	v_add_f64 v[10:11], v[68:69], -v[70:71]
	v_add_f64 v[124:125], v[124:125], v[134:135]
	v_add_f64 v[112:113], v[84:85], v[114:115]
	v_fma_f64 v[84:85], s[4:5], v[6:7], v[8:9]
	v_add_f64 v[0:1], v[4:5], v[0:1]
	v_add_f64 v[4:5], v[72:73], v[74:75]
	v_add_f64 v[8:9], v[72:73], -v[74:75]
	v_mul_f64 v[72:73], v[10:11], s[26:27]
	v_add_f64 v[118:119], v[118:119], v[124:125]
	v_add_f64 v[100:101], v[100:101], v[108:109]
	v_fma_f64 v[108:109], s[24:25], v[6:7], v[86:87]
	v_add_f64 v[6:7], v[68:69], v[70:71]
	v_fma_f64 v[68:69], v[4:5], s[24:25], -v[72:73]
	v_mul_f64 v[74:75], v[8:9], s[26:27]
	v_fmac_f64_e32 v[72:73], s[24:25], v[4:5]
	v_add_f64 v[114:115], v[84:85], v[118:119]
	v_add_f64 v[84:85], v[72:73], v[76:77]
	v_fma_f64 v[72:73], v[6:7], s[24:25], -v[74:75]
	v_mul_f64 v[76:77], v[10:11], s[28:29]
	v_add_f64 v[68:69], v[68:69], v[78:79]
	v_add_f64 v[86:87], v[72:73], v[80:81]
	v_fma_f64 v[72:73], v[4:5], s[18:19], -v[76:77]
	v_mul_f64 v[78:79], v[8:9], s[28:29]
	v_fmac_f64_e32 v[76:77], s[18:19], v[4:5]
	v_fma_f64 v[70:71], s[24:25], v[6:7], v[74:75]
	v_add_f64 v[72:73], v[72:73], v[88:89]
	v_add_f64 v[88:89], v[76:77], v[90:91]
	v_fma_f64 v[76:77], v[6:7], s[18:19], -v[78:79]
	v_mul_f64 v[80:81], v[10:11], s[22:23]
	v_add_f64 v[70:71], v[70:71], v[82:83]
	v_fma_f64 v[74:75], s[18:19], v[6:7], v[78:79]
	v_add_f64 v[90:91], v[76:77], v[94:95]
	v_fma_f64 v[76:77], v[4:5], s[20:21], -v[80:81]
	v_mul_f64 v[82:83], v[8:9], s[22:23]
	v_fmac_f64_e32 v[80:81], s[20:21], v[4:5]
	v_add_f64 v[74:75], v[74:75], v[92:93]
	v_add_f64 v[76:77], v[76:77], v[96:97]
	;; [unrolled: 1-line block ×3, first 2 shown]
	v_fma_f64 v[80:81], v[6:7], s[20:21], -v[82:83]
	v_mul_f64 v[92:93], v[10:11], s[14:15]
	v_fma_f64 v[78:79], s[20:21], v[6:7], v[82:83]
	v_add_f64 v[98:99], v[80:81], v[102:103]
	v_fma_f64 v[80:81], v[4:5], s[4:5], -v[92:93]
	v_mul_f64 v[94:95], v[8:9], s[14:15]
	v_fmac_f64_e32 v[92:93], s[4:5], v[4:5]
	v_add_f64 v[122:123], v[122:123], v[128:129]
	v_add_f64 v[78:79], v[78:79], v[100:101]
	;; [unrolled: 1-line block ×3, first 2 shown]
	v_fma_f64 v[92:93], v[6:7], s[4:5], -v[94:95]
	v_mul_f64 v[10:11], v[10:11], s[16:17]
	v_add_f64 v[116:117], v[116:117], v[122:123]
	v_add_f64 v[102:103], v[92:93], v[110:111]
	v_fma_f64 v[92:93], v[4:5], s[6:7], -v[10:11]
	v_mul_f64 v[8:9], v[8:9], s[16:17]
	v_fmac_f64_e32 v[10:11], s[6:7], v[4:5]
	v_add_f64 v[108:109], v[108:109], v[116:117]
	v_add_f64 v[80:81], v[80:81], v[104:105]
	v_fma_f64 v[82:83], s[4:5], v[6:7], v[94:95]
	v_fma_f64 v[94:95], s[6:7], v[6:7], v[8:9]
	v_add_f64 v[104:105], v[10:11], v[2:3]
	v_fma_f64 v[2:3], v[6:7], s[6:7], -v[8:9]
	v_add_f64 v[82:83], v[82:83], v[108:109]
	v_add_f64 v[92:93], v[92:93], v[112:113]
	;; [unrolled: 1-line block ×4, first 2 shown]
	ds_write_b128 v226, v[64:67]
	ds_write_b128 v226, v[68:71] offset:272
	ds_write_b128 v226, v[72:75] offset:544
	;; [unrolled: 1-line block ×10, first 2 shown]
	s_waitcnt lgkmcnt(0)
	s_barrier
	s_and_saveexec_b64 s[4:5], vcc
	s_cbranch_execz .LBB0_9
; %bb.8:
	global_load_dwordx4 v[108:111], v161, s[8:9] offset:2992
	s_add_u32 s6, s8, 0xbb0
	s_addc_u32 s7, s9, 0
	global_load_dwordx4 v[112:115], v161, s[6:7] offset:176
	global_load_dwordx4 v[116:119], v161, s[6:7] offset:352
	;; [unrolled: 1-line block ×12, first 2 shown]
	ds_read_b128 v[162:165], v226
	ds_read_b128 v[166:169], v226 offset:176
	global_load_dwordx4 v[170:173], v161, s[6:7] offset:2288
	ds_read_b128 v[174:177], v226 offset:352
	ds_read_b128 v[178:181], v226 offset:528
	;; [unrolled: 1-line block ×6, first 2 shown]
	global_load_dwordx4 v[198:201], v161, s[6:7] offset:2464
	ds_read_b128 v[202:205], v226 offset:1408
	ds_read_b128 v[206:209], v226 offset:1584
	;; [unrolled: 1-line block ×4, first 2 shown]
	global_load_dwordx4 v[218:221], v161, s[6:7] offset:2640
	global_load_dwordx4 v[222:225], v161, s[6:7] offset:2816
	s_waitcnt vmcnt(14) lgkmcnt(9)
	v_mul_f64 v[2:3], v[176:177], v[118:119]
	s_waitcnt vmcnt(13) lgkmcnt(8)
	v_mul_f64 v[4:5], v[180:181], v[122:123]
	;; [unrolled: 2-line block ×5, first 2 shown]
	v_mul_f64 v[0:1], v[164:165], v[110:111]
	v_mul_f64 v[230:231], v[162:163], v[110:111]
	v_fma_f64 v[228:229], v[162:163], v[108:109], -v[0:1]
	v_fmac_f64_e32 v[230:231], v[164:165], v[108:109]
	v_mul_f64 v[0:1], v[168:169], v[114:115]
	v_mul_f64 v[110:111], v[166:167], v[114:115]
	ds_write_b128 v226, v[228:231]
	v_mul_f64 v[114:115], v[174:175], v[118:119]
	v_mul_f64 v[118:119], v[178:179], v[122:123]
	;; [unrolled: 1-line block ×5, first 2 shown]
	s_waitcnt vmcnt(9) lgkmcnt(5)
	v_mul_f64 v[162:163], v[196:197], v[138:139]
	v_mul_f64 v[134:135], v[194:195], v[138:139]
	s_waitcnt vmcnt(8) lgkmcnt(4)
	v_mul_f64 v[164:165], v[204:205], v[142:143]
	v_mul_f64 v[138:139], v[202:203], v[142:143]
	;; [unrolled: 3-line block ×4, first 2 shown]
	v_fma_f64 v[108:109], v[166:167], v[112:113], -v[0:1]
	v_fmac_f64_e32 v[110:111], v[168:169], v[112:113]
	v_fma_f64 v[112:113], v[174:175], v[116:117], -v[2:3]
	v_fmac_f64_e32 v[114:115], v[176:177], v[116:117]
	;; [unrolled: 2-line block ×10, first 2 shown]
	ds_write_b128 v226, v[108:111] offset:176
	ds_write_b128 v226, v[112:115] offset:352
	ds_write_b128 v226, v[116:119] offset:528
	ds_write_b128 v226, v[120:123] offset:704
	ds_write_b128 v226, v[124:127] offset:880
	ds_write_b128 v226, v[128:131] offset:1056
	ds_write_b128 v226, v[132:135] offset:1232
	ds_write_b128 v226, v[136:139] offset:1408
	ds_write_b128 v226, v[140:143] offset:1584
	ds_write_b128 v226, v[144:147] offset:1760
	ds_read_b128 v[112:115], v226 offset:2112
	s_waitcnt vmcnt(5) lgkmcnt(12)
	v_mul_f64 v[0:1], v[216:217], v[154:155]
	v_mul_f64 v[110:111], v[214:215], v[154:155]
	v_fma_f64 v[108:109], v[214:215], v[152:153], -v[0:1]
	v_fmac_f64_e32 v[110:111], v[216:217], v[152:153]
	ds_write_b128 v226, v[108:111] offset:1936
	ds_read_b128 v[108:111], v226 offset:2288
	s_waitcnt vmcnt(4) lgkmcnt(2)
	v_mul_f64 v[0:1], v[114:115], v[158:159]
	v_mul_f64 v[118:119], v[112:113], v[158:159]
	v_fma_f64 v[116:117], v[112:113], v[156:157], -v[0:1]
	v_fmac_f64_e32 v[118:119], v[114:115], v[156:157]
	ds_write_b128 v226, v[116:119] offset:2112
	ds_read_b128 v[116:119], v226 offset:2464
	s_waitcnt vmcnt(3) lgkmcnt(2)
	v_mul_f64 v[0:1], v[110:111], v[172:173]
	v_mul_f64 v[114:115], v[108:109], v[172:173]
	v_fma_f64 v[112:113], v[108:109], v[170:171], -v[0:1]
	v_fmac_f64_e32 v[114:115], v[110:111], v[170:171]
	ds_read_b128 v[108:111], v226 offset:2640
	ds_write_b128 v226, v[112:115] offset:2288
	s_waitcnt vmcnt(2) lgkmcnt(2)
	v_mul_f64 v[0:1], v[118:119], v[200:201]
	v_mul_f64 v[114:115], v[116:117], v[200:201]
	v_fma_f64 v[112:113], v[116:117], v[198:199], -v[0:1]
	v_fmac_f64_e32 v[114:115], v[118:119], v[198:199]
	ds_write_b128 v226, v[112:115] offset:2464
	ds_read_b128 v[112:115], v226 offset:2816
	s_waitcnt vmcnt(1) lgkmcnt(3)
	v_mul_f64 v[0:1], v[110:111], v[220:221]
	v_mul_f64 v[118:119], v[108:109], v[220:221]
	v_fma_f64 v[116:117], v[108:109], v[218:219], -v[0:1]
	v_fmac_f64_e32 v[118:119], v[110:111], v[218:219]
	s_waitcnt vmcnt(0) lgkmcnt(0)
	v_mul_f64 v[0:1], v[114:115], v[224:225]
	v_mul_f64 v[110:111], v[112:113], v[224:225]
	v_fma_f64 v[108:109], v[112:113], v[222:223], -v[0:1]
	v_fmac_f64_e32 v[110:111], v[114:115], v[222:223]
	ds_write_b128 v226, v[116:119] offset:2640
	ds_write_b128 v226, v[108:111] offset:2816
.LBB0_9:
	s_or_b64 exec, exec, s[4:5]
	s_waitcnt lgkmcnt(0)
	s_barrier
	s_and_saveexec_b64 s[4:5], vcc
	s_cbranch_execz .LBB0_11
; %bb.10:
	ds_read_b128 v[64:67], v226
	ds_read_b128 v[68:71], v226 offset:176
	ds_read_b128 v[72:75], v226 offset:352
	;; [unrolled: 1-line block ×16, first 2 shown]
.LBB0_11:
	s_or_b64 exec, exec, s[4:5]
	s_waitcnt lgkmcnt(0)
	s_barrier
	s_and_saveexec_b64 s[4:5], vcc
	s_cbranch_execz .LBB0_13
; %bb.12:
	v_accvgpr_write_b32 a16, v30
	v_accvgpr_write_b32 a17, v31
	;; [unrolled: 1-line block ×4, first 2 shown]
	v_accvgpr_read_b32 v33, a15
	v_accvgpr_read_b32 v32, a14
	;; [unrolled: 1-line block ×4, first 2 shown]
	v_accvgpr_write_b32 a12, v26
	v_accvgpr_write_b32 a13, v27
	;; [unrolled: 1-line block ×4, first 2 shown]
	v_accvgpr_read_b32 v29, a11
	v_mov_b64_e32 v[130:131], v[20:21]
	v_add_f64 v[178:179], v[104:105], -v[18:19]
	v_add_f64 v[166:167], v[106:107], v[20:21]
	v_accvgpr_read_b32 v28, a10
	v_accvgpr_read_b32 v27, a9
	;; [unrolled: 1-line block ×3, first 2 shown]
	v_accvgpr_write_b32 a8, v22
	v_mov_b64_e32 v[128:129], v[18:19]
	v_accvgpr_read_b32 v21, a3
	v_accvgpr_write_b32 a9, v23
	v_accvgpr_write_b32 a10, v24
	v_accvgpr_write_b32 a11, v25
	v_accvgpr_read_b32 v25, a7
	v_accvgpr_read_b32 v19, a1
	;; [unrolled: 1-line block ×3, first 2 shown]
	s_mov_b32 s34, 0xacd6c6b4
	v_accvgpr_read_b32 v23, a5
	v_accvgpr_read_b32 v22, a4
	s_mov_b32 s38, 0x5d8e7cdc
	v_accvgpr_read_b32 v20, a2
	v_add_f64 v[208:209], v[68:69], -v[18:19]
	s_mov_b32 s35, 0xbfc7851a
	s_mov_b32 s28, 0x7faef3
	;; [unrolled: 1-line block ×3, first 2 shown]
	v_accvgpr_read_b32 v24, a6
	v_add_f64 v[206:207], v[72:73], -v[22:23]
	s_mov_b32 s39, 0x3fd71e95
	s_mov_b32 s24, 0x370991
	v_mul_f64 v[124:125], v[208:209], s[34:35]
	v_add_f64 v[184:185], v[70:71], v[20:21]
	s_mov_b32 s29, 0xbfef7484
	v_accvgpr_read_b32 v12, a96
	s_mov_b32 s44, 0x2a9d6da3
	v_add_f64 v[198:199], v[76:77], -v[26:27]
	s_mov_b32 s31, 0xbfe0d888
	s_mov_b32 s22, 0x910ea3b9
	v_mul_f64 v[120:121], v[206:207], s[38:39]
	v_add_f64 v[180:181], v[74:75], v[24:25]
	s_mov_b32 s25, 0x3fedd6d0
	v_fma_f64 v[126:127], s[28:29], v[184:185], v[124:125]
	v_add_f64 v[224:225], v[70:71], -v[20:21]
	v_accvgpr_read_b32 v13, a97
	s_mov_b32 s26, 0x6c9a05f6
	v_add_f64 v[186:187], v[80:81], -v[30:31]
	s_mov_b32 s45, 0x3fe58eea
	s_mov_b32 s18, 0x75d4884
	v_mul_f64 v[116:117], v[198:199], s[30:31]
	v_add_f64 v[176:177], v[78:79], v[28:29]
	s_mov_b32 s23, 0xbfeb34fa
	v_fma_f64 v[122:123], s[24:25], v[180:181], v[120:121]
	v_add_f64 v[126:127], v[66:67], v[126:127]
	v_add_f64 v[222:223], v[74:75], -v[24:25]
	v_add_f64 v[204:205], v[68:69], v[18:19]
	v_mul_f64 v[142:143], v[224:225], s[34:35]
	s_mov_b32 s36, 0x7c9e640b
	v_accvgpr_read_b32 v14, a98
	v_accvgpr_read_b32 v15, a99
	v_add_f64 v[182:183], v[92:93], -v[12:13]
	s_mov_b32 s27, 0xbfe9895b
	s_mov_b32 s16, 0x6ed5f1bb
	v_mul_f64 v[114:115], v[186:187], s[44:45]
	v_add_f64 v[172:173], v[82:83], v[32:33]
	s_mov_b32 s19, 0x3fe7a5f6
	v_fma_f64 v[118:119], s[22:23], v[176:177], v[116:117]
	v_add_f64 v[122:123], v[122:123], v[126:127]
	v_add_f64 v[220:221], v[78:79], -v[28:29]
	v_add_f64 v[202:203], v[72:73], v[22:23]
	v_mul_f64 v[138:139], v[222:223], s[38:39]
	v_fma_f64 v[144:145], v[204:205], s[28:29], -v[142:143]
	s_mov_b32 s20, 0x923c349f
	s_mov_b32 s37, 0x3feca52d
	;; [unrolled: 1-line block ×3, first 2 shown]
	v_mul_f64 v[112:113], v[182:183], s[26:27]
	v_add_f64 v[168:169], v[94:95], v[14:15]
	s_mov_b32 s17, 0xbfe348c8
	v_fma_f64 v[110:111], s[18:19], v[172:173], v[114:115]
	v_add_f64 v[118:119], v[118:119], v[122:123]
	v_accvgpr_write_b32 a24, v128
	v_add_f64 v[218:219], v[82:83], -v[32:33]
	v_add_f64 v[200:201], v[76:77], v[26:27]
	v_mul_f64 v[134:135], v[220:221], s[30:31]
	v_fma_f64 v[140:141], v[202:203], s[24:25], -v[138:139]
	v_add_f64 v[144:145], v[64:65], v[144:145]
	s_mov_b32 s48, 0xeb564b22
	v_add_f64 v[174:175], v[100:101], -v[84:85]
	s_mov_b32 s21, 0xbfeec746
	s_mov_b32 s10, 0xc61f0d01
	v_mul_f64 v[8:9], v[178:179], s[36:37]
	s_mov_b32 s15, 0x3fdc86fa
	v_fma_f64 v[108:109], s[16:17], v[168:169], v[112:113]
	v_add_f64 v[110:111], v[110:111], v[118:119]
	v_add_f64 v[214:215], v[106:107], -v[130:131]
	v_accvgpr_write_b32 a25, v129
	v_accvgpr_write_b32 a26, v130
	v_accvgpr_write_b32 a27, v131
	v_add_f64 v[216:217], v[94:95], -v[14:15]
	v_add_f64 v[196:197], v[80:81], v[30:31]
	v_mul_f64 v[130:131], v[218:219], s[44:45]
	v_fma_f64 v[136:137], v[200:201], s[22:23], -v[134:135]
	v_add_f64 v[140:141], v[140:141], v[144:145]
	v_add_f64 v[170:171], v[96:97], -v[88:89]
	s_mov_b32 s49, 0x3fefdd0d
	s_mov_b32 s6, 0x3259b75e
	v_mul_f64 v[4:5], v[174:175], s[20:21]
	v_add_f64 v[164:165], v[102:103], v[86:87]
	s_mov_b32 s11, 0xbfd183b1
	v_fma_f64 v[10:11], s[14:15], v[166:167], v[8:9]
	v_add_f64 v[108:109], v[108:109], v[110:111]
	v_add_f64 v[194:195], v[92:93], v[12:13]
	v_mul_f64 v[126:127], v[216:217], s[26:27]
	v_fma_f64 v[132:133], v[196:197], s[18:19], -v[130:131]
	v_add_f64 v[136:137], v[136:137], v[140:141]
	v_mul_f64 v[0:1], v[170:171], s[48:49]
	v_add_f64 v[162:163], v[98:99], v[90:91]
	s_mov_b32 s7, 0x3fb79ee6
	v_fma_f64 v[6:7], s[10:11], v[164:165], v[4:5]
	v_add_f64 v[10:11], v[10:11], v[108:109]
	v_add_f64 v[212:213], v[102:103], -v[86:87]
	v_add_f64 v[192:193], v[104:105], v[128:129]
	v_mul_f64 v[118:119], v[214:215], s[36:37]
	v_fma_f64 v[128:129], v[194:195], s[16:17], -v[126:127]
	v_add_f64 v[132:133], v[132:133], v[136:137]
	v_fma_f64 v[2:3], s[6:7], v[162:163], v[0:1]
	v_add_f64 v[6:7], v[6:7], v[10:11]
	v_add_f64 v[210:211], v[98:99], -v[90:91]
	v_add_f64 v[190:191], v[100:101], v[84:85]
	v_mul_f64 v[10:11], v[212:213], s[20:21]
	v_fma_f64 v[122:123], v[192:193], s[14:15], -v[118:119]
	v_add_f64 v[128:129], v[128:129], v[132:133]
	v_add_f64 v[110:111], v[2:3], v[6:7]
	;; [unrolled: 1-line block ×3, first 2 shown]
	v_mul_f64 v[2:3], v[210:211], s[48:49]
	v_fma_f64 v[108:109], v[190:191], s[10:11], -v[10:11]
	v_add_f64 v[122:123], v[122:123], v[128:129]
	v_fma_f64 v[6:7], v[188:189], s[6:7], -v[2:3]
	v_add_f64 v[108:109], v[108:109], v[122:123]
	v_add_f64 v[108:109], v[6:7], v[108:109]
	v_fma_f64 v[6:7], v[166:167], s[14:15], -v[8:9]
	v_fma_f64 v[8:9], v[168:169], s[16:17], -v[112:113]
	;; [unrolled: 1-line block ×6, first 2 shown]
	v_add_f64 v[120:121], v[66:67], v[120:121]
	v_add_f64 v[116:117], v[116:117], v[120:121]
	;; [unrolled: 1-line block ×5, first 2 shown]
	v_fma_f64 v[4:5], v[164:165], s[10:11], -v[4:5]
	v_add_f64 v[6:7], v[6:7], v[8:9]
	v_fma_f64 v[0:1], v[162:163], s[6:7], -v[0:1]
	v_add_f64 v[4:5], v[4:5], v[6:7]
	v_fmac_f64_e32 v[142:143], s[28:29], v[204:205]
	v_add_f64 v[114:115], v[0:1], v[4:5]
	v_fmac_f64_e32 v[138:139], s[24:25], v[202:203]
	;; [unrolled: 2-line block ×3, first 2 shown]
	v_add_f64 v[0:1], v[138:139], v[0:1]
	v_mul_f64 v[132:133], v[208:209], s[30:31]
	v_fmac_f64_e32 v[130:131], s[18:19], v[196:197]
	v_add_f64 v[0:1], v[134:135], v[0:1]
	s_mov_b32 s43, 0xbfefdd0d
	s_mov_b32 s42, s48
	v_mul_f64 v[128:129], v[206:207], s[36:37]
	v_fma_f64 v[134:135], s[22:23], v[184:185], v[132:133]
	v_fmac_f64_e32 v[126:127], s[16:17], v[194:195]
	v_add_f64 v[0:1], v[130:131], v[0:1]
	s_mov_b32 s55, 0x3fe9895b
	s_mov_b32 s54, s26
	v_mul_f64 v[124:125], v[198:199], s[42:43]
	v_fma_f64 v[130:131], s[14:15], v[180:181], v[128:129]
	v_add_f64 v[134:135], v[66:67], v[134:135]
	v_mul_f64 v[150:151], v[224:225], s[30:31]
	v_fmac_f64_e32 v[118:119], s[14:15], v[192:193]
	v_add_f64 v[0:1], v[126:127], v[0:1]
	s_mov_b32 s41, 0xbfd71e95
	s_mov_b32 s40, s38
	v_mul_f64 v[122:123], v[186:187], s[54:55]
	v_fma_f64 v[126:127], s[6:7], v[176:177], v[124:125]
	v_add_f64 v[130:131], v[130:131], v[134:135]
	v_mul_f64 v[146:147], v[222:223], s[36:37]
	v_fma_f64 v[152:153], v[204:205], s[22:23], -v[150:151]
	v_add_f64 v[0:1], v[118:119], v[0:1]
	v_mul_f64 v[120:121], v[182:183], s[40:41]
	v_fma_f64 v[118:119], s[16:17], v[172:173], v[122:123]
	v_add_f64 v[126:127], v[126:127], v[130:131]
	v_mul_f64 v[142:143], v[220:221], s[42:43]
	v_fma_f64 v[148:149], v[202:203], s[14:15], -v[146:147]
	v_add_f64 v[152:153], v[64:65], v[152:153]
	v_fmac_f64_e32 v[10:11], s[10:11], v[190:191]
	v_mul_f64 v[8:9], v[178:179], s[34:35]
	v_fma_f64 v[116:117], s[24:25], v[168:169], v[120:121]
	v_add_f64 v[118:119], v[118:119], v[126:127]
	v_mul_f64 v[138:139], v[218:219], s[54:55]
	v_fma_f64 v[144:145], v[200:201], s[6:7], -v[142:143]
	v_add_f64 v[148:149], v[148:149], v[152:153]
	v_fmac_f64_e32 v[2:3], s[6:7], v[188:189]
	v_add_f64 v[0:1], v[10:11], v[0:1]
	v_mul_f64 v[4:5], v[174:175], s[44:45]
	v_fma_f64 v[10:11], s[28:29], v[166:167], v[8:9]
	v_add_f64 v[116:117], v[116:117], v[118:119]
	v_mul_f64 v[134:135], v[216:217], s[40:41]
	v_fma_f64 v[140:141], v[196:197], s[16:17], -v[138:139]
	v_add_f64 v[144:145], v[144:145], v[148:149]
	v_add_f64 v[112:113], v[2:3], v[0:1]
	v_mul_f64 v[0:1], v[170:171], s[20:21]
	v_fma_f64 v[6:7], s[18:19], v[164:165], v[4:5]
	v_add_f64 v[10:11], v[10:11], v[116:117]
	v_mul_f64 v[126:127], v[214:215], s[34:35]
	v_fma_f64 v[136:137], v[194:195], s[24:25], -v[134:135]
	v_add_f64 v[140:141], v[140:141], v[144:145]
	v_fma_f64 v[2:3], s[10:11], v[162:163], v[0:1]
	v_add_f64 v[6:7], v[6:7], v[10:11]
	v_mul_f64 v[10:11], v[212:213], s[44:45]
	v_fma_f64 v[130:131], v[192:193], s[28:29], -v[126:127]
	v_add_f64 v[136:137], v[136:137], v[140:141]
	v_add_f64 v[118:119], v[2:3], v[6:7]
	v_mul_f64 v[2:3], v[210:211], s[20:21]
	v_fma_f64 v[116:117], v[190:191], s[18:19], -v[10:11]
	v_add_f64 v[130:131], v[130:131], v[136:137]
	v_fma_f64 v[6:7], v[188:189], s[10:11], -v[2:3]
	v_add_f64 v[116:117], v[116:117], v[130:131]
	v_add_f64 v[116:117], v[6:7], v[116:117]
	v_fma_f64 v[6:7], v[166:167], s[28:29], -v[8:9]
	v_fma_f64 v[8:9], v[168:169], s[24:25], -v[120:121]
	;; [unrolled: 1-line block ×6, first 2 shown]
	v_add_f64 v[128:129], v[66:67], v[128:129]
	v_add_f64 v[124:125], v[124:125], v[128:129]
	;; [unrolled: 1-line block ×5, first 2 shown]
	v_fma_f64 v[4:5], v[164:165], s[18:19], -v[4:5]
	v_add_f64 v[6:7], v[6:7], v[8:9]
	v_fma_f64 v[0:1], v[162:163], s[10:11], -v[0:1]
	v_add_f64 v[4:5], v[4:5], v[6:7]
	v_fmac_f64_e32 v[150:151], s[22:23], v[204:205]
	v_add_f64 v[122:123], v[0:1], v[4:5]
	v_fmac_f64_e32 v[146:147], s[14:15], v[202:203]
	;; [unrolled: 2-line block ×3, first 2 shown]
	v_add_f64 v[0:1], v[146:147], v[0:1]
	s_mov_b32 s53, 0x3feec746
	s_mov_b32 s52, s20
	v_mul_f64 v[140:141], v[208:209], s[26:27]
	v_fmac_f64_e32 v[138:139], s[16:17], v[196:197]
	v_add_f64 v[0:1], v[142:143], v[0:1]
	v_mul_f64 v[136:137], v[206:207], s[52:53]
	v_fma_f64 v[142:143], s[16:17], v[184:185], v[140:141]
	v_fmac_f64_e32 v[134:135], s[24:25], v[194:195]
	v_add_f64 v[0:1], v[138:139], v[0:1]
	v_mul_f64 v[132:133], v[198:199], s[40:41]
	v_fma_f64 v[138:139], s[10:11], v[180:181], v[136:137]
	v_add_f64 v[142:143], v[66:67], v[142:143]
	v_mul_f64 v[158:159], v[224:225], s[26:27]
	v_fmac_f64_e32 v[126:127], s[28:29], v[192:193]
	v_add_f64 v[0:1], v[134:135], v[0:1]
	v_mul_f64 v[130:131], v[186:187], s[30:31]
	v_fma_f64 v[134:135], s[24:25], v[176:177], v[132:133]
	v_add_f64 v[138:139], v[138:139], v[142:143]
	v_mul_f64 v[154:155], v[222:223], s[52:53]
	v_fma_f64 v[228:229], v[204:205], s[16:17], -v[158:159]
	v_add_f64 v[0:1], v[126:127], v[0:1]
	s_mov_b32 s47, 0xbfe58eea
	s_mov_b32 s46, s44
	v_mul_f64 v[128:129], v[182:183], s[48:49]
	v_fma_f64 v[126:127], s[22:23], v[172:173], v[130:131]
	v_add_f64 v[134:135], v[134:135], v[138:139]
	v_mul_f64 v[150:151], v[220:221], s[40:41]
	v_fma_f64 v[156:157], v[202:203], s[10:11], -v[154:155]
	v_add_f64 v[228:229], v[64:65], v[228:229]
	v_fmac_f64_e32 v[10:11], s[18:19], v[190:191]
	v_mul_f64 v[8:9], v[178:179], s[46:47]
	v_fma_f64 v[124:125], s[6:7], v[168:169], v[128:129]
	v_add_f64 v[126:127], v[126:127], v[134:135]
	v_mul_f64 v[146:147], v[218:219], s[30:31]
	v_fma_f64 v[152:153], v[200:201], s[24:25], -v[150:151]
	v_add_f64 v[156:157], v[156:157], v[228:229]
	v_fmac_f64_e32 v[2:3], s[10:11], v[188:189]
	v_add_f64 v[0:1], v[10:11], v[0:1]
	v_mul_f64 v[4:5], v[174:175], s[34:35]
	v_fma_f64 v[10:11], s[18:19], v[166:167], v[8:9]
	v_add_f64 v[124:125], v[124:125], v[126:127]
	v_mul_f64 v[142:143], v[216:217], s[48:49]
	v_fma_f64 v[148:149], v[196:197], s[22:23], -v[146:147]
	v_add_f64 v[152:153], v[152:153], v[156:157]
	v_add_f64 v[120:121], v[2:3], v[0:1]
	v_mul_f64 v[0:1], v[170:171], s[36:37]
	v_fma_f64 v[6:7], s[28:29], v[164:165], v[4:5]
	v_add_f64 v[10:11], v[10:11], v[124:125]
	v_mul_f64 v[134:135], v[214:215], s[46:47]
	v_fma_f64 v[144:145], v[194:195], s[6:7], -v[142:143]
	v_add_f64 v[148:149], v[148:149], v[152:153]
	v_fma_f64 v[2:3], s[14:15], v[162:163], v[0:1]
	v_add_f64 v[6:7], v[6:7], v[10:11]
	v_mul_f64 v[10:11], v[212:213], s[34:35]
	v_fma_f64 v[138:139], v[192:193], s[18:19], -v[134:135]
	v_add_f64 v[144:145], v[144:145], v[148:149]
	v_add_f64 v[126:127], v[2:3], v[6:7]
	v_mul_f64 v[2:3], v[210:211], s[36:37]
	v_fma_f64 v[124:125], v[190:191], s[28:29], -v[10:11]
	v_add_f64 v[138:139], v[138:139], v[144:145]
	v_fma_f64 v[6:7], v[188:189], s[14:15], -v[2:3]
	v_add_f64 v[124:125], v[124:125], v[138:139]
	v_add_f64 v[124:125], v[6:7], v[124:125]
	v_fma_f64 v[6:7], v[166:167], s[18:19], -v[8:9]
	v_fma_f64 v[8:9], v[168:169], s[6:7], -v[128:129]
	;; [unrolled: 1-line block ×6, first 2 shown]
	v_add_f64 v[136:137], v[66:67], v[136:137]
	v_add_f64 v[132:133], v[132:133], v[136:137]
	v_add_f64 v[130:131], v[130:131], v[132:133]
	v_add_f64 v[128:129], v[128:129], v[130:131]
	v_add_f64 v[8:9], v[8:9], v[128:129]
	v_fma_f64 v[4:5], v[164:165], s[28:29], -v[4:5]
	v_add_f64 v[6:7], v[6:7], v[8:9]
	v_fma_f64 v[0:1], v[162:163], s[14:15], -v[0:1]
	v_add_f64 v[4:5], v[4:5], v[6:7]
	v_fmac_f64_e32 v[158:159], s[16:17], v[204:205]
	v_add_f64 v[130:131], v[0:1], v[4:5]
	v_fmac_f64_e32 v[154:155], s[10:11], v[202:203]
	;; [unrolled: 2-line block ×3, first 2 shown]
	v_add_f64 v[0:1], v[154:155], v[0:1]
	s_mov_b32 s57, 0x3fe0d888
	s_mov_b32 s56, s30
	v_mul_f64 v[148:149], v[208:209], s[20:21]
	v_fmac_f64_e32 v[146:147], s[22:23], v[196:197]
	v_add_f64 v[0:1], v[150:151], v[0:1]
	v_mul_f64 v[144:145], v[206:207], s[56:57]
	v_fma_f64 v[150:151], s[10:11], v[184:185], v[148:149]
	v_fmac_f64_e32 v[142:143], s[6:7], v[194:195]
	v_add_f64 v[0:1], v[146:147], v[0:1]
	s_mov_b32 s51, 0xbfeca52d
	s_mov_b32 s50, s36
	v_mul_f64 v[140:141], v[198:199], s[44:45]
	v_fma_f64 v[146:147], s[22:23], v[180:181], v[144:145]
	v_add_f64 v[150:151], v[66:67], v[150:151]
	v_mul_f64 v[234:235], v[224:225], s[20:21]
	v_fmac_f64_e32 v[134:135], s[18:19], v[192:193]
	v_add_f64 v[0:1], v[142:143], v[0:1]
	v_mul_f64 v[138:139], v[186:187], s[50:51]
	v_fma_f64 v[142:143], s[18:19], v[176:177], v[140:141]
	v_add_f64 v[146:147], v[146:147], v[150:151]
	v_mul_f64 v[230:231], v[222:223], s[56:57]
	v_fma_f64 v[236:237], v[204:205], s[10:11], -v[234:235]
	v_add_f64 v[0:1], v[134:135], v[0:1]
	v_mul_f64 v[136:137], v[182:183], s[34:35]
	v_fma_f64 v[134:135], s[14:15], v[172:173], v[138:139]
	v_add_f64 v[142:143], v[142:143], v[146:147]
	v_mul_f64 v[158:159], v[220:221], s[44:45]
	v_fma_f64 v[232:233], v[202:203], s[22:23], -v[230:231]
	v_add_f64 v[236:237], v[64:65], v[236:237]
	v_fmac_f64_e32 v[10:11], s[28:29], v[190:191]
	v_mul_f64 v[8:9], v[178:179], s[48:49]
	v_fma_f64 v[132:133], s[28:29], v[168:169], v[136:137]
	v_add_f64 v[134:135], v[134:135], v[142:143]
	v_mul_f64 v[154:155], v[218:219], s[50:51]
	v_fma_f64 v[228:229], v[200:201], s[18:19], -v[158:159]
	v_add_f64 v[232:233], v[232:233], v[236:237]
	v_fmac_f64_e32 v[2:3], s[14:15], v[188:189]
	v_add_f64 v[0:1], v[10:11], v[0:1]
	v_mul_f64 v[4:5], v[174:175], s[40:41]
	v_fma_f64 v[10:11], s[6:7], v[166:167], v[8:9]
	v_add_f64 v[132:133], v[132:133], v[134:135]
	v_mul_f64 v[150:151], v[216:217], s[34:35]
	v_fma_f64 v[156:157], v[196:197], s[14:15], -v[154:155]
	v_add_f64 v[228:229], v[228:229], v[232:233]
	v_add_f64 v[128:129], v[2:3], v[0:1]
	v_mul_f64 v[0:1], v[170:171], s[26:27]
	v_fma_f64 v[6:7], s[24:25], v[164:165], v[4:5]
	v_add_f64 v[10:11], v[10:11], v[132:133]
	v_mul_f64 v[142:143], v[214:215], s[48:49]
	v_fma_f64 v[152:153], v[194:195], s[28:29], -v[150:151]
	v_add_f64 v[156:157], v[156:157], v[228:229]
	v_fma_f64 v[2:3], s[16:17], v[162:163], v[0:1]
	v_add_f64 v[6:7], v[6:7], v[10:11]
	v_mul_f64 v[10:11], v[212:213], s[40:41]
	v_fma_f64 v[146:147], v[192:193], s[6:7], -v[142:143]
	v_add_f64 v[152:153], v[152:153], v[156:157]
	v_add_f64 v[134:135], v[2:3], v[6:7]
	v_mul_f64 v[2:3], v[210:211], s[26:27]
	v_fma_f64 v[132:133], v[190:191], s[24:25], -v[10:11]
	v_add_f64 v[146:147], v[146:147], v[152:153]
	v_fma_f64 v[6:7], v[188:189], s[16:17], -v[2:3]
	v_add_f64 v[132:133], v[132:133], v[146:147]
	v_add_f64 v[132:133], v[6:7], v[132:133]
	v_fma_f64 v[6:7], v[166:167], s[6:7], -v[8:9]
	v_fma_f64 v[8:9], v[168:169], s[28:29], -v[136:137]
	;; [unrolled: 1-line block ×6, first 2 shown]
	v_add_f64 v[144:145], v[66:67], v[144:145]
	v_add_f64 v[140:141], v[140:141], v[144:145]
	;; [unrolled: 1-line block ×5, first 2 shown]
	v_fma_f64 v[4:5], v[164:165], s[24:25], -v[4:5]
	v_add_f64 v[6:7], v[6:7], v[8:9]
	v_fma_f64 v[0:1], v[162:163], s[16:17], -v[0:1]
	v_add_f64 v[4:5], v[4:5], v[6:7]
	v_fmac_f64_e32 v[234:235], s[10:11], v[204:205]
	v_add_f64 v[138:139], v[0:1], v[4:5]
	v_fmac_f64_e32 v[230:231], s[22:23], v[202:203]
	;; [unrolled: 2-line block ×3, first 2 shown]
	v_add_f64 v[0:1], v[230:231], v[0:1]
	v_mul_f64 v[156:157], v[208:209], s[42:43]
	v_fmac_f64_e32 v[154:155], s[14:15], v[196:197]
	v_add_f64 v[0:1], v[158:159], v[0:1]
	v_mul_f64 v[152:153], v[206:207], s[34:35]
	v_fma_f64 v[158:159], s[6:7], v[184:185], v[156:157]
	v_fmac_f64_e32 v[150:151], s[28:29], v[194:195]
	v_add_f64 v[0:1], v[154:155], v[0:1]
	v_mul_f64 v[148:149], v[198:199], s[52:53]
	v_fma_f64 v[154:155], s[28:29], v[180:181], v[152:153]
	v_add_f64 v[158:159], v[66:67], v[158:159]
	v_mul_f64 v[242:243], v[224:225], s[42:43]
	v_fmac_f64_e32 v[142:143], s[6:7], v[192:193]
	v_add_f64 v[0:1], v[150:151], v[0:1]
	v_mul_f64 v[146:147], v[186:187], s[38:39]
	v_fma_f64 v[150:151], s[10:11], v[176:177], v[148:149]
	v_add_f64 v[154:155], v[154:155], v[158:159]
	v_mul_f64 v[238:239], v[222:223], s[34:35]
	v_fma_f64 v[244:245], v[204:205], s[6:7], -v[242:243]
	v_add_f64 v[0:1], v[142:143], v[0:1]
	v_mul_f64 v[144:145], v[182:183], s[50:51]
	v_fma_f64 v[142:143], s[24:25], v[172:173], v[146:147]
	v_add_f64 v[150:151], v[150:151], v[154:155]
	v_mul_f64 v[234:235], v[220:221], s[52:53]
	v_fma_f64 v[240:241], v[202:203], s[28:29], -v[238:239]
	v_add_f64 v[244:245], v[64:65], v[244:245]
	v_fmac_f64_e32 v[10:11], s[24:25], v[190:191]
	v_mul_f64 v[8:9], v[178:179], s[30:31]
	v_fma_f64 v[140:141], s[14:15], v[168:169], v[144:145]
	v_add_f64 v[142:143], v[142:143], v[150:151]
	v_mul_f64 v[230:231], v[218:219], s[38:39]
	v_fma_f64 v[236:237], v[200:201], s[10:11], -v[234:235]
	v_add_f64 v[240:241], v[240:241], v[244:245]
	v_fmac_f64_e32 v[2:3], s[16:17], v[188:189]
	v_add_f64 v[0:1], v[10:11], v[0:1]
	v_mul_f64 v[4:5], v[174:175], s[54:55]
	v_fma_f64 v[10:11], s[22:23], v[166:167], v[8:9]
	v_add_f64 v[140:141], v[140:141], v[142:143]
	v_mul_f64 v[158:159], v[216:217], s[50:51]
	v_fma_f64 v[232:233], v[196:197], s[24:25], -v[230:231]
	v_add_f64 v[236:237], v[236:237], v[240:241]
	v_add_f64 v[136:137], v[2:3], v[0:1]
	v_mul_f64 v[0:1], v[170:171], s[44:45]
	v_fma_f64 v[6:7], s[16:17], v[164:165], v[4:5]
	v_add_f64 v[10:11], v[10:11], v[140:141]
	v_mul_f64 v[150:151], v[214:215], s[30:31]
	v_fma_f64 v[228:229], v[194:195], s[14:15], -v[158:159]
	v_add_f64 v[232:233], v[232:233], v[236:237]
	v_fma_f64 v[2:3], s[18:19], v[162:163], v[0:1]
	v_add_f64 v[6:7], v[6:7], v[10:11]
	v_mul_f64 v[10:11], v[212:213], s[54:55]
	v_fma_f64 v[154:155], v[192:193], s[22:23], -v[150:151]
	v_add_f64 v[228:229], v[228:229], v[232:233]
	v_add_f64 v[142:143], v[2:3], v[6:7]
	v_mul_f64 v[2:3], v[210:211], s[44:45]
	v_fma_f64 v[140:141], v[190:191], s[16:17], -v[10:11]
	v_add_f64 v[154:155], v[154:155], v[228:229]
	v_fma_f64 v[6:7], v[188:189], s[18:19], -v[2:3]
	v_add_f64 v[140:141], v[140:141], v[154:155]
	v_add_f64 v[140:141], v[6:7], v[140:141]
	v_fma_f64 v[6:7], v[166:167], s[22:23], -v[8:9]
	v_fma_f64 v[8:9], v[168:169], s[14:15], -v[144:145]
	;; [unrolled: 1-line block ×6, first 2 shown]
	v_add_f64 v[152:153], v[66:67], v[152:153]
	v_add_f64 v[148:149], v[148:149], v[152:153]
	;; [unrolled: 1-line block ×5, first 2 shown]
	v_fma_f64 v[4:5], v[164:165], s[16:17], -v[4:5]
	v_add_f64 v[6:7], v[6:7], v[8:9]
	v_fma_f64 v[0:1], v[162:163], s[18:19], -v[0:1]
	v_add_f64 v[4:5], v[4:5], v[6:7]
	v_fmac_f64_e32 v[242:243], s[6:7], v[204:205]
	v_add_f64 v[146:147], v[0:1], v[4:5]
	v_fmac_f64_e32 v[238:239], s[28:29], v[202:203]
	;; [unrolled: 2-line block ×3, first 2 shown]
	v_add_f64 v[0:1], v[238:239], v[0:1]
	v_mul_f64 v[232:233], v[208:209], s[50:51]
	v_fmac_f64_e32 v[230:231], s[24:25], v[196:197]
	v_add_f64 v[0:1], v[234:235], v[0:1]
	s_mov_b32 s49, 0x3fc7851a
	s_mov_b32 s48, s34
	v_mul_f64 v[228:229], v[206:207], s[26:27]
	v_fma_f64 v[234:235], s[14:15], v[184:185], v[232:233]
	v_fmac_f64_e32 v[158:159], s[14:15], v[194:195]
	v_add_f64 v[0:1], v[230:231], v[0:1]
	v_mul_f64 v[156:157], v[198:199], s[48:49]
	v_fma_f64 v[230:231], s[16:17], v[180:181], v[228:229]
	v_add_f64 v[234:235], v[66:67], v[234:235]
	v_mul_f64 v[250:251], v[224:225], s[50:51]
	v_fmac_f64_e32 v[150:151], s[22:23], v[192:193]
	v_add_f64 v[0:1], v[158:159], v[0:1]
	v_mul_f64 v[154:155], v[186:187], s[52:53]
	v_fma_f64 v[158:159], s[28:29], v[176:177], v[156:157]
	v_add_f64 v[230:231], v[230:231], v[234:235]
	v_mul_f64 v[246:247], v[222:223], s[26:27]
	v_fma_f64 v[252:253], v[204:205], s[14:15], -v[250:251]
	v_add_f64 v[0:1], v[150:151], v[0:1]
	v_mul_f64 v[152:153], v[182:183], s[44:45]
	v_fma_f64 v[150:151], s[10:11], v[172:173], v[154:155]
	v_add_f64 v[158:159], v[158:159], v[230:231]
	v_mul_f64 v[242:243], v[220:221], s[48:49]
	v_fma_f64 v[248:249], v[202:203], s[16:17], -v[246:247]
	v_add_f64 v[252:253], v[64:65], v[252:253]
	v_fmac_f64_e32 v[10:11], s[16:17], v[190:191]
	v_mul_f64 v[8:9], v[178:179], s[40:41]
	v_fma_f64 v[148:149], s[18:19], v[168:169], v[152:153]
	v_add_f64 v[150:151], v[150:151], v[158:159]
	v_mul_f64 v[238:239], v[218:219], s[52:53]
	v_fma_f64 v[244:245], v[200:201], s[28:29], -v[242:243]
	v_add_f64 v[248:249], v[248:249], v[252:253]
	v_fmac_f64_e32 v[2:3], s[18:19], v[188:189]
	v_add_f64 v[0:1], v[10:11], v[0:1]
	v_mul_f64 v[4:5], v[174:175], s[42:43]
	v_fma_f64 v[10:11], s[24:25], v[166:167], v[8:9]
	v_add_f64 v[148:149], v[148:149], v[150:151]
	v_mul_f64 v[234:235], v[216:217], s[44:45]
	v_fma_f64 v[240:241], v[196:197], s[10:11], -v[238:239]
	v_add_f64 v[244:245], v[244:245], v[248:249]
	v_add_f64 v[144:145], v[2:3], v[0:1]
	v_mul_f64 v[0:1], v[170:171], s[30:31]
	v_fma_f64 v[6:7], s[6:7], v[164:165], v[4:5]
	v_add_f64 v[10:11], v[10:11], v[148:149]
	v_mul_f64 v[230:231], v[214:215], s[40:41]
	v_fma_f64 v[236:237], v[194:195], s[18:19], -v[234:235]
	v_add_f64 v[240:241], v[240:241], v[244:245]
	v_fma_f64 v[2:3], s[22:23], v[162:163], v[0:1]
	v_add_f64 v[6:7], v[6:7], v[10:11]
	v_mul_f64 v[10:11], v[212:213], s[42:43]
	v_fma_f64 v[158:159], v[192:193], s[24:25], -v[230:231]
	v_add_f64 v[236:237], v[236:237], v[240:241]
	v_add_f64 v[150:151], v[2:3], v[6:7]
	v_mul_f64 v[2:3], v[210:211], s[30:31]
	v_fma_f64 v[148:149], v[190:191], s[6:7], -v[10:11]
	v_add_f64 v[158:159], v[158:159], v[236:237]
	v_fma_f64 v[6:7], v[188:189], s[22:23], -v[2:3]
	v_add_f64 v[148:149], v[148:149], v[158:159]
	;; [unrolled: 2-line block ×3, first 2 shown]
	v_fma_f64 v[6:7], v[166:167], s[24:25], -v[8:9]
	v_fma_f64 v[8:9], v[168:169], s[18:19], -v[152:153]
	;; [unrolled: 1-line block ×5, first 2 shown]
	v_add_f64 v[158:159], v[66:67], v[158:159]
	v_add_f64 v[156:157], v[156:157], v[158:159]
	;; [unrolled: 1-line block ×5, first 2 shown]
	v_fma_f64 v[4:5], v[164:165], s[6:7], -v[4:5]
	v_add_f64 v[6:7], v[6:7], v[8:9]
	v_fma_f64 v[0:1], v[162:163], s[22:23], -v[0:1]
	v_add_f64 v[4:5], v[4:5], v[6:7]
	v_fmac_f64_e32 v[250:251], s[14:15], v[204:205]
	v_add_f64 v[158:159], v[0:1], v[4:5]
	v_fmac_f64_e32 v[246:247], s[16:17], v[202:203]
	;; [unrolled: 2-line block ×4, first 2 shown]
	v_add_f64 v[0:1], v[242:243], v[0:1]
	v_mul_f64 v[240:241], v[208:209], s[46:47]
	v_fmac_f64_e32 v[234:235], s[18:19], v[194:195]
	v_add_f64 v[0:1], v[238:239], v[0:1]
	v_mul_f64 v[236:237], v[206:207], s[42:43]
	v_fma_f64 v[242:243], s[18:19], v[184:185], v[240:241]
	v_accvgpr_write_b32 a20, v108
	v_fmac_f64_e32 v[230:231], s[24:25], v[192:193]
	v_add_f64 v[0:1], v[234:235], v[0:1]
	v_mul_f64 v[232:233], v[198:199], s[26:27]
	v_fma_f64 v[238:239], s[6:7], v[180:181], v[236:237]
	v_add_f64 v[242:243], v[66:67], v[242:243]
	v_mul_f64 v[14:15], v[224:225], s[46:47]
	v_accvgpr_write_b32 a21, v109
	v_accvgpr_write_b32 a22, v110
	;; [unrolled: 1-line block ×3, first 2 shown]
	v_add_f64 v[0:1], v[230:231], v[0:1]
	v_mul_f64 v[230:231], v[186:187], s[34:35]
	v_fma_f64 v[234:235], s[16:17], v[176:177], v[232:233]
	v_add_f64 v[238:239], v[238:239], v[242:243]
	v_accvgpr_write_b32 a0, v254
	v_mov_b32_e32 v16, v255
	v_mul_f64 v[254:255], v[222:223], s[42:43]
	v_fma_f64 v[108:109], v[204:205], s[18:19], -v[14:15]
	v_mul_f64 v[228:229], v[182:183], s[56:57]
	v_fma_f64 v[154:155], s[28:29], v[172:173], v[230:231]
	v_add_f64 v[234:235], v[234:235], v[238:239]
	v_mul_f64 v[250:251], v[220:221], s[26:27]
	v_fma_f64 v[12:13], v[202:203], s[6:7], -v[254:255]
	v_add_f64 v[108:109], v[64:65], v[108:109]
	v_fmac_f64_e32 v[10:11], s[6:7], v[190:191]
	v_mul_f64 v[8:9], v[178:179], s[52:53]
	v_fma_f64 v[152:153], s[22:23], v[168:169], v[228:229]
	v_add_f64 v[154:155], v[154:155], v[234:235]
	v_mul_f64 v[246:247], v[218:219], s[34:35]
	v_fma_f64 v[252:253], v[200:201], s[16:17], -v[250:251]
	v_add_f64 v[12:13], v[12:13], v[108:109]
	v_fmac_f64_e32 v[2:3], s[22:23], v[188:189]
	v_add_f64 v[0:1], v[10:11], v[0:1]
	v_mul_f64 v[4:5], v[174:175], s[36:37]
	v_fma_f64 v[10:11], s[10:11], v[166:167], v[8:9]
	v_add_f64 v[152:153], v[152:153], v[154:155]
	v_mul_f64 v[242:243], v[216:217], s[56:57]
	v_fma_f64 v[248:249], v[196:197], s[28:29], -v[246:247]
	v_add_f64 v[12:13], v[252:253], v[12:13]
	v_add_f64 v[156:157], v[2:3], v[0:1]
	v_mul_f64 v[0:1], v[170:171], s[38:39]
	v_fma_f64 v[6:7], s[14:15], v[164:165], v[4:5]
	v_add_f64 v[10:11], v[10:11], v[152:153]
	v_mul_f64 v[234:235], v[214:215], s[52:53]
	v_fma_f64 v[244:245], v[194:195], s[22:23], -v[242:243]
	v_add_f64 v[12:13], v[248:249], v[12:13]
	v_fma_f64 v[2:3], s[24:25], v[162:163], v[0:1]
	v_add_f64 v[6:7], v[6:7], v[10:11]
	v_mul_f64 v[10:11], v[212:213], s[36:37]
	v_fma_f64 v[238:239], v[192:193], s[10:11], -v[234:235]
	v_add_f64 v[12:13], v[244:245], v[12:13]
	v_add_f64 v[154:155], v[2:3], v[6:7]
	v_mul_f64 v[2:3], v[210:211], s[38:39]
	v_fma_f64 v[152:153], v[190:191], s[14:15], -v[10:11]
	v_add_f64 v[12:13], v[238:239], v[12:13]
	v_fma_f64 v[6:7], v[188:189], s[24:25], -v[2:3]
	v_add_f64 v[12:13], v[152:153], v[12:13]
	v_add_f64 v[152:153], v[6:7], v[12:13]
	v_fma_f64 v[6:7], v[166:167], s[10:11], -v[8:9]
	v_fma_f64 v[8:9], v[168:169], s[22:23], -v[228:229]
	;; [unrolled: 1-line block ×4, first 2 shown]
	v_add_f64 v[228:229], v[66:67], v[228:229]
	v_fma_f64 v[108:109], v[176:177], s[16:17], -v[232:233]
	v_add_f64 v[110:111], v[110:111], v[228:229]
	v_fma_f64 v[12:13], v[172:173], s[28:29], -v[230:231]
	v_add_f64 v[108:109], v[108:109], v[110:111]
	v_add_f64 v[12:13], v[12:13], v[108:109]
	;; [unrolled: 1-line block ×3, first 2 shown]
	v_fma_f64 v[4:5], v[164:165], s[14:15], -v[4:5]
	v_add_f64 v[6:7], v[6:7], v[8:9]
	v_fma_f64 v[0:1], v[162:163], s[24:25], -v[0:1]
	v_add_f64 v[4:5], v[4:5], v[6:7]
	v_fmac_f64_e32 v[14:15], s[18:19], v[204:205]
	v_add_f64 v[230:231], v[0:1], v[4:5]
	v_fmac_f64_e32 v[254:255], s[6:7], v[202:203]
	;; [unrolled: 2-line block ×8, first 2 shown]
	v_add_f64 v[0:1], v[10:11], v[0:1]
	v_mul_f64 v[108:109], v[186:187], s[42:43]
	v_mul_f64 v[186:187], v[208:209], s[40:41]
	v_add_f64 v[228:229], v[2:3], v[0:1]
	v_mul_f64 v[0:1], v[170:171], s[34:35]
	v_mul_f64 v[8:9], v[178:179], s[26:27]
	v_mul_f64 v[170:171], v[198:199], s[50:51]
	v_mul_f64 v[178:179], v[206:207], s[46:47]
	v_fma_f64 v[198:199], s[24:25], v[184:185], v[186:187]
	v_mul_f64 v[12:13], v[182:183], s[20:21]
	v_fma_f64 v[182:183], s[18:19], v[180:181], v[178:179]
	v_add_f64 v[198:199], v[66:67], v[198:199]
	v_mul_f64 v[4:5], v[174:175], s[30:31]
	v_fma_f64 v[174:175], s[14:15], v[176:177], v[170:171]
	v_add_f64 v[182:183], v[182:183], v[198:199]
	v_fma_f64 v[110:111], s[6:7], v[172:173], v[108:109]
	v_add_f64 v[174:175], v[174:175], v[182:183]
	;; [unrolled: 2-line block ×5, first 2 shown]
	v_add_f64 v[6:7], v[6:7], v[10:11]
	v_mul_f64 v[10:11], v[212:213], s[30:31]
	v_mul_f64 v[212:213], v[220:221], s[50:51]
	;; [unrolled: 1-line block ×3, first 2 shown]
	v_fma_f64 v[2:3], s[28:29], v[162:163], v[0:1]
	v_mul_f64 v[182:183], v[216:217], s[20:21]
	v_mul_f64 v[216:217], v[222:223], s[46:47]
	v_fma_f64 v[222:223], v[204:205], s[24:25], -v[220:221]
	v_add_f64 v[208:209], v[2:3], v[6:7]
	v_mul_f64 v[2:3], v[210:211], s[34:35]
	v_mul_f64 v[210:211], v[218:219], s[42:43]
	v_fma_f64 v[218:219], v[202:203], s[18:19], -v[216:217]
	v_add_f64 v[222:223], v[64:65], v[222:223]
	v_mul_f64 v[110:111], v[214:215], s[26:27]
	v_fma_f64 v[214:215], v[200:201], s[14:15], -v[212:213]
	v_add_f64 v[218:219], v[218:219], v[222:223]
	v_fma_f64 v[206:207], v[196:197], s[6:7], -v[210:211]
	v_add_f64 v[214:215], v[214:215], v[218:219]
	;; [unrolled: 2-line block ×6, first 2 shown]
	v_fma_f64 v[0:1], v[162:163], s[28:29], -v[0:1]
	v_fma_f64 v[162:163], v[184:185], s[24:25], -v[186:187]
	v_add_f64 v[206:207], v[6:7], v[14:15]
	v_fma_f64 v[6:7], v[166:167], s[16:17], -v[8:9]
	v_fma_f64 v[8:9], v[168:169], s[10:11], -v[12:13]
	;; [unrolled: 1-line block ×4, first 2 shown]
	v_add_f64 v[162:163], v[66:67], v[162:163]
	v_fma_f64 v[14:15], v[176:177], s[14:15], -v[170:171]
	v_add_f64 v[108:109], v[108:109], v[162:163]
	v_add_f64 v[14:15], v[14:15], v[108:109]
	;; [unrolled: 1-line block ×4, first 2 shown]
	v_fma_f64 v[4:5], v[164:165], s[22:23], -v[4:5]
	v_add_f64 v[6:7], v[6:7], v[8:9]
	v_add_f64 v[4:5], v[4:5], v[6:7]
	v_fmac_f64_e32 v[220:221], s[24:25], v[204:205]
	v_add_f64 v[164:165], v[0:1], v[4:5]
	v_fmac_f64_e32 v[216:217], s[18:19], v[202:203]
	v_add_f64 v[0:1], v[64:65], v[220:221]
	v_fmac_f64_e32 v[212:213], s[14:15], v[200:201]
	v_add_f64 v[0:1], v[216:217], v[0:1]
	v_fmac_f64_e32 v[210:211], s[6:7], v[196:197]
	v_add_f64 v[0:1], v[212:213], v[0:1]
	v_fmac_f64_e32 v[182:183], s[10:11], v[194:195]
	v_add_f64 v[0:1], v[210:211], v[0:1]
	v_fmac_f64_e32 v[110:111], s[16:17], v[192:193]
	v_add_f64 v[0:1], v[182:183], v[0:1]
	v_fmac_f64_e32 v[10:11], s[22:23], v[190:191]
	v_add_f64 v[0:1], v[110:111], v[0:1]
	v_fmac_f64_e32 v[2:3], s[28:29], v[188:189]
	v_add_f64 v[0:1], v[10:11], v[0:1]
	v_add_f64 v[162:163], v[2:3], v[0:1]
	;; [unrolled: 1-line block ×10, first 2 shown]
	v_accvgpr_write_b32 a2, v34
	v_add_f64 v[0:1], v[0:1], v[90:91]
	v_accvgpr_read_b32 v4, a24
	v_accvgpr_write_b32 a3, v35
	v_accvgpr_write_b32 a4, v36
	;; [unrolled: 1-line block ×3, first 2 shown]
	v_accvgpr_read_b32 v34, a96
	v_add_f64 v[0:1], v[0:1], v[86:87]
	v_accvgpr_read_b32 v6, a26
	v_accvgpr_read_b32 v7, a27
	;; [unrolled: 1-line block ×4, first 2 shown]
	v_add_f64 v[0:1], v[0:1], v[6:7]
	v_add_f64 v[0:1], v[0:1], v[36:37]
	;; [unrolled: 1-line block ×15, first 2 shown]
	v_accvgpr_read_b32 v5, a25
	v_add_f64 v[0:1], v[0:1], v[84:85]
	v_accvgpr_read_b32 v35, a97
	v_add_f64 v[0:1], v[0:1], v[4:5]
	v_add_f64 v[0:1], v[0:1], v[34:35]
	;; [unrolled: 1-line block ×3, first 2 shown]
	v_accvgpr_read_b32 v254, a0
	v_add_f64 v[0:1], v[0:1], v[26:27]
	v_accvgpr_read_b32 v37, a5
	v_accvgpr_read_b32 v33, a19
	;; [unrolled: 1-line block ×3, first 2 shown]
	v_add_f64 v[0:1], v[0:1], v[22:23]
	v_accvgpr_read_b32 v25, a11
	v_mul_lo_u16_e32 v4, 17, v254
	v_accvgpr_read_b32 v36, a4
	v_accvgpr_read_b32 v35, a3
	;; [unrolled: 1-line block ×12, first 2 shown]
	v_add_f64 v[0:1], v[0:1], v[18:19]
	v_lshl_add_u32 v4, v4, 4, v16
	ds_write_b128 v4, v[0:3]
	ds_write_b128 v4, v[162:165] offset:16
	ds_write_b128 v4, v[228:231] offset:32
	;; [unrolled: 1-line block ×16, first 2 shown]
.LBB0_13:
	s_or_b64 exec, exec, s[4:5]
	s_waitcnt lgkmcnt(0)
	s_barrier
	ds_read_b128 v[4:7], v227
	ds_read_b128 v[0:3], v227 offset:272
	ds_read_b128 v[8:11], v227 offset:544
	;; [unrolled: 1-line block ×10, first 2 shown]
	s_waitcnt lgkmcnt(9)
	v_mul_f64 v[88:89], v[36:37], v[2:3]
	v_fmac_f64_e32 v[88:89], v[34:35], v[0:1]
	v_mul_f64 v[0:1], v[36:37], v[0:1]
	v_fma_f64 v[36:37], v[34:35], v[2:3], -v[0:1]
	s_waitcnt lgkmcnt(8)
	v_mul_f64 v[0:1], v[32:33], v[8:9]
	v_mul_f64 v[38:39], v[32:33], v[10:11]
	v_fma_f64 v[32:33], v[30:31], v[10:11], -v[0:1]
	s_waitcnt lgkmcnt(7)
	v_mul_f64 v[0:1], v[28:29], v[12:13]
	;; [unrolled: 4-line block ×3, first 2 shown]
	v_mul_f64 v[0:1], v[24:25], v[18:19]
	v_fmac_f64_e32 v[16:17], v[22:23], v[18:19]
	v_fma_f64 v[18:19], v[22:23], v[20:21], -v[0:1]
	s_waitcnt lgkmcnt(5)
	v_mul_f64 v[0:1], v[54:55], v[64:65]
	v_fma_f64 v[10:11], v[52:53], v[66:67], -v[0:1]
	s_waitcnt lgkmcnt(4)
	v_mul_f64 v[0:1], v[50:51], v[68:69]
	;; [unrolled: 3-line block ×4, first 2 shown]
	v_fmac_f64_e32 v[34:35], v[26:27], v[12:13]
	v_mul_f64 v[24:25], v[42:43], v[78:79]
	v_fma_f64 v[26:27], v[40:41], v[78:79], -v[0:1]
	s_waitcnt lgkmcnt(1)
	v_mul_f64 v[0:1], v[62:63], v[80:81]
	v_mul_f64 v[20:21], v[46:47], v[74:75]
	v_fmac_f64_e32 v[24:25], v[40:41], v[76:77]
	v_fma_f64 v[40:41], v[60:61], v[82:83], -v[0:1]
	s_waitcnt lgkmcnt(0)
	v_mul_f64 v[0:1], v[58:59], v[84:85]
	v_fmac_f64_e32 v[38:39], v[30:31], v[8:9]
	v_fmac_f64_e32 v[20:21], v[44:45], v[72:73]
	v_fma_f64 v[44:45], v[56:57], v[86:87], -v[0:1]
	v_add_f64 v[0:1], v[4:5], v[88:89]
	v_add_f64 v[2:3], v[6:7], v[36:37]
	;; [unrolled: 1-line block ×4, first 2 shown]
	v_mul_f64 v[8:9], v[54:55], v[66:67]
	v_add_f64 v[0:1], v[0:1], v[34:35]
	v_add_f64 v[2:3], v[2:3], v[28:29]
	v_fmac_f64_e32 v[8:9], v[52:53], v[64:65]
	v_mul_f64 v[12:13], v[50:51], v[70:71]
	v_add_f64 v[0:1], v[0:1], v[16:17]
	v_add_f64 v[2:3], v[2:3], v[18:19]
	v_fmac_f64_e32 v[12:13], v[48:49], v[68:69]
	v_add_f64 v[0:1], v[0:1], v[8:9]
	v_add_f64 v[2:3], v[2:3], v[10:11]
	;; [unrolled: 1-line block ×4, first 2 shown]
	v_mul_f64 v[30:31], v[62:63], v[82:83]
	v_add_f64 v[0:1], v[0:1], v[20:21]
	v_add_f64 v[2:3], v[2:3], v[22:23]
	v_fmac_f64_e32 v[30:31], v[60:61], v[80:81]
	v_mul_f64 v[42:43], v[58:59], v[86:87]
	v_add_f64 v[0:1], v[0:1], v[24:25]
	v_add_f64 v[2:3], v[2:3], v[26:27]
	s_mov_b32 s18, 0xf8bb580b
	s_mov_b32 s20, 0x8764f0ba
	s_mov_b32 s6, 0x8eee2c13
	s_mov_b32 s10, 0xd9c712b6
	s_mov_b32 s4, 0x43842ef
	s_mov_b32 s16, 0x640f44db
	s_mov_b32 s26, 0xbb3a28a1
	s_mov_b32 s28, 0x7f775887
	s_mov_b32 s34, 0xfd768dbf
	s_mov_b32 s36, 0x9bcd5057
	v_fmac_f64_e32 v[42:43], v[56:57], v[84:85]
	v_add_f64 v[0:1], v[0:1], v[30:31]
	v_add_f64 v[2:3], v[2:3], v[40:41]
	v_add_f64 v[48:49], v[36:37], v[44:45]
	v_add_f64 v[36:37], v[36:37], -v[44:45]
	s_mov_b32 s19, 0xbfe14ced
	s_mov_b32 s21, 0x3feaeb8c
	s_mov_b32 s7, 0xbfed1bb4
	s_mov_b32 s11, 0x3fda9628
	s_mov_b32 s5, 0xbfefac9e
	s_mov_b32 s17, 0xbfc2375f
	s_mov_b32 s27, 0xbfe82f19
	s_mov_b32 s29, 0xbfe4f49e
	s_mov_b32 s35, 0xbfd207e7
	s_mov_b32 s37, 0xbfeeb42a
	v_add_f64 v[0:1], v[0:1], v[42:43]
	v_add_f64 v[2:3], v[2:3], v[44:45]
	;; [unrolled: 1-line block ×3, first 2 shown]
	v_add_f64 v[42:43], v[88:89], -v[42:43]
	v_mul_f64 v[44:45], v[36:37], s[18:19]
	v_mul_f64 v[52:53], v[48:49], s[20:21]
	s_mov_b32 s23, 0x3fe14ced
	s_mov_b32 s22, s18
	v_mul_f64 v[56:57], v[36:37], s[6:7]
	v_mul_f64 v[60:61], v[48:49], s[10:11]
	s_mov_b32 s15, 0x3fed1bb4
	s_mov_b32 s14, s6
	;; [unrolled: 4-line block ×5, first 2 shown]
	v_fma_f64 v[50:51], s[20:21], v[46:47], v[44:45]
	v_fma_f64 v[54:55], s[22:23], v[42:43], v[52:53]
	v_fma_f64 v[44:45], v[46:47], s[20:21], -v[44:45]
	v_fmac_f64_e32 v[52:53], s[18:19], v[42:43]
	v_fma_f64 v[58:59], s[10:11], v[46:47], v[56:57]
	v_fma_f64 v[62:63], s[14:15], v[42:43], v[60:61]
	v_fma_f64 v[56:57], v[46:47], s[10:11], -v[56:57]
	v_fmac_f64_e32 v[60:61], s[6:7], v[42:43]
	;; [unrolled: 4-line block ×5, first 2 shown]
	v_add_f64 v[42:43], v[32:33], v[40:41]
	v_add_f64 v[32:33], v[32:33], -v[40:41]
	v_add_f64 v[50:51], v[4:5], v[50:51]
	v_add_f64 v[44:45], v[4:5], v[44:45]
	;; [unrolled: 1-line block ×11, first 2 shown]
	v_add_f64 v[30:31], v[38:39], -v[30:31]
	v_mul_f64 v[38:39], v[32:33], s[6:7]
	v_mul_f64 v[46:47], v[42:43], s[10:11]
	v_add_f64 v[54:55], v[6:7], v[54:55]
	v_add_f64 v[52:53], v[6:7], v[52:53]
	;; [unrolled: 1-line block ×10, first 2 shown]
	v_fma_f64 v[40:41], s[10:11], v[36:37], v[38:39]
	v_fma_f64 v[48:49], s[14:15], v[30:31], v[46:47]
	v_fma_f64 v[38:39], v[36:37], s[10:11], -v[38:39]
	v_fmac_f64_e32 v[46:47], s[6:7], v[30:31]
	v_add_f64 v[38:39], v[38:39], v[44:45]
	v_add_f64 v[44:45], v[46:47], v[52:53]
	v_mul_f64 v[46:47], v[32:33], s[26:27]
	v_add_f64 v[40:41], v[40:41], v[50:51]
	v_fma_f64 v[50:51], s[28:29], v[36:37], v[46:47]
	v_fma_f64 v[46:47], v[36:37], s[28:29], -v[46:47]
	v_add_f64 v[46:47], v[46:47], v[56:57]
	v_mul_f64 v[56:57], v[32:33], s[38:39]
	v_add_f64 v[50:51], v[50:51], v[58:59]
	v_mul_f64 v[52:53], v[42:43], s[28:29]
	v_fma_f64 v[58:59], s[36:37], v[36:37], v[56:57]
	v_fma_f64 v[56:57], v[36:37], s[36:37], -v[56:57]
	v_add_f64 v[48:49], v[48:49], v[54:55]
	v_fma_f64 v[54:55], s[30:31], v[30:31], v[52:53]
	v_fmac_f64_e32 v[52:53], s[26:27], v[30:31]
	v_add_f64 v[56:57], v[56:57], v[64:65]
	v_mul_f64 v[64:65], v[32:33], s[24:25]
	v_add_f64 v[52:53], v[52:53], v[60:61]
	v_add_f64 v[58:59], v[58:59], v[66:67]
	v_mul_f64 v[60:61], v[42:43], s[36:37]
	v_fma_f64 v[66:67], s[16:17], v[36:37], v[64:65]
	v_fma_f64 v[64:65], v[36:37], s[16:17], -v[64:65]
	v_mul_f64 v[32:33], v[32:33], s[22:23]
	v_add_f64 v[54:55], v[54:55], v[62:63]
	v_fma_f64 v[62:63], s[34:35], v[30:31], v[60:61]
	v_fmac_f64_e32 v[60:61], s[38:39], v[30:31]
	v_add_f64 v[64:65], v[64:65], v[72:73]
	v_fma_f64 v[72:73], s[20:21], v[36:37], v[32:33]
	v_fma_f64 v[32:33], v[36:37], s[20:21], -v[32:33]
	v_add_f64 v[60:61], v[60:61], v[68:69]
	v_mul_f64 v[68:69], v[42:43], s[16:17]
	v_mul_f64 v[42:43], v[42:43], s[20:21]
	v_add_f64 v[4:5], v[32:33], v[4:5]
	v_add_f64 v[32:33], v[28:29], v[26:27]
	v_add_f64 v[26:27], v[28:29], -v[26:27]
	v_add_f64 v[62:63], v[62:63], v[70:71]
	v_add_f64 v[66:67], v[66:67], v[74:75]
	v_fma_f64 v[70:71], s[4:5], v[30:31], v[68:69]
	v_fmac_f64_e32 v[68:69], s[24:25], v[30:31]
	v_fma_f64 v[74:75], s[18:19], v[30:31], v[42:43]
	v_fmac_f64_e32 v[42:43], s[22:23], v[30:31]
	v_add_f64 v[30:31], v[34:35], v[24:25]
	v_mul_f64 v[28:29], v[26:27], s[4:5]
	v_add_f64 v[24:25], v[34:35], -v[24:25]
	v_fma_f64 v[34:35], s[16:17], v[30:31], v[28:29]
	v_fma_f64 v[28:29], v[30:31], s[16:17], -v[28:29]
	v_add_f64 v[28:29], v[28:29], v[38:39]
	v_mul_f64 v[38:39], v[26:27], s[38:39]
	v_add_f64 v[6:7], v[42:43], v[6:7]
	v_mul_f64 v[36:37], v[32:33], s[16:17]
	v_fma_f64 v[42:43], s[36:37], v[30:31], v[38:39]
	v_fma_f64 v[38:39], v[30:31], s[36:37], -v[38:39]
	v_add_f64 v[34:35], v[34:35], v[40:41]
	v_fma_f64 v[40:41], s[24:25], v[24:25], v[36:37]
	v_fmac_f64_e32 v[36:37], s[4:5], v[24:25]
	v_add_f64 v[38:39], v[38:39], v[46:47]
	v_mul_f64 v[46:47], v[26:27], s[14:15]
	v_add_f64 v[36:37], v[36:37], v[44:45]
	v_add_f64 v[42:43], v[42:43], v[50:51]
	v_mul_f64 v[44:45], v[32:33], s[36:37]
	v_fma_f64 v[50:51], s[10:11], v[30:31], v[46:47]
	v_fma_f64 v[46:47], v[30:31], s[10:11], -v[46:47]
	v_add_f64 v[40:41], v[40:41], v[48:49]
	v_fma_f64 v[48:49], s[34:35], v[24:25], v[44:45]
	v_fmac_f64_e32 v[44:45], s[38:39], v[24:25]
	v_add_f64 v[46:47], v[46:47], v[56:57]
	v_mul_f64 v[56:57], v[26:27], s[18:19]
	v_add_f64 v[44:45], v[44:45], v[52:53]
	v_add_f64 v[50:51], v[50:51], v[58:59]
	v_mul_f64 v[52:53], v[32:33], s[10:11]
	v_fma_f64 v[58:59], s[20:21], v[30:31], v[56:57]
	v_fma_f64 v[56:57], v[30:31], s[20:21], -v[56:57]
	v_mul_f64 v[26:27], v[26:27], s[26:27]
	v_add_f64 v[48:49], v[48:49], v[54:55]
	v_fma_f64 v[54:55], s[6:7], v[24:25], v[52:53]
	v_fmac_f64_e32 v[52:53], s[14:15], v[24:25]
	v_add_f64 v[56:57], v[56:57], v[64:65]
	v_fma_f64 v[64:65], s[28:29], v[30:31], v[26:27]
	v_fma_f64 v[26:27], v[30:31], s[28:29], -v[26:27]
	v_add_f64 v[52:53], v[52:53], v[60:61]
	v_mul_f64 v[60:61], v[32:33], s[20:21]
	v_mul_f64 v[32:33], v[32:33], s[28:29]
	v_add_f64 v[4:5], v[26:27], v[4:5]
	v_add_f64 v[26:27], v[18:19], v[22:23]
	v_add_f64 v[18:19], v[18:19], -v[22:23]
	v_add_f64 v[54:55], v[54:55], v[62:63]
	v_add_f64 v[58:59], v[58:59], v[66:67]
	v_fma_f64 v[62:63], s[22:23], v[24:25], v[60:61]
	v_fmac_f64_e32 v[60:61], s[18:19], v[24:25]
	v_fma_f64 v[66:67], s[30:31], v[24:25], v[32:33]
	v_fmac_f64_e32 v[32:33], s[26:27], v[24:25]
	v_add_f64 v[24:25], v[16:17], v[20:21]
	v_add_f64 v[16:17], v[16:17], -v[20:21]
	v_mul_f64 v[20:21], v[18:19], s[26:27]
	v_mul_f64 v[30:31], v[26:27], s[28:29]
	v_add_f64 v[6:7], v[32:33], v[6:7]
	v_fma_f64 v[22:23], s[28:29], v[24:25], v[20:21]
	v_fma_f64 v[32:33], s[30:31], v[16:17], v[30:31]
	v_fma_f64 v[20:21], v[24:25], s[28:29], -v[20:21]
	v_fmac_f64_e32 v[30:31], s[26:27], v[16:17]
	v_add_f64 v[20:21], v[20:21], v[28:29]
	v_add_f64 v[28:29], v[30:31], v[36:37]
	v_mul_f64 v[30:31], v[18:19], s[24:25]
	v_add_f64 v[22:23], v[22:23], v[34:35]
	v_fma_f64 v[34:35], s[16:17], v[24:25], v[30:31]
	v_mul_f64 v[36:37], v[26:27], s[16:17]
	v_fma_f64 v[30:31], v[24:25], s[16:17], -v[30:31]
	v_add_f64 v[32:33], v[32:33], v[40:41]
	v_fma_f64 v[40:41], s[4:5], v[16:17], v[36:37]
	v_add_f64 v[30:31], v[30:31], v[38:39]
	v_fmac_f64_e32 v[36:37], s[24:25], v[16:17]
	v_mul_f64 v[38:39], v[18:19], s[18:19]
	v_add_f64 v[34:35], v[34:35], v[42:43]
	v_add_f64 v[36:37], v[36:37], v[44:45]
	v_fma_f64 v[42:43], s[20:21], v[24:25], v[38:39]
	v_mul_f64 v[44:45], v[26:27], s[20:21]
	v_fma_f64 v[38:39], v[24:25], s[20:21], -v[38:39]
	v_add_f64 v[40:41], v[40:41], v[48:49]
	v_fma_f64 v[48:49], s[22:23], v[16:17], v[44:45]
	v_add_f64 v[38:39], v[38:39], v[46:47]
	v_fmac_f64_e32 v[44:45], s[18:19], v[16:17]
	v_mul_f64 v[46:47], v[18:19], s[34:35]
	v_add_f64 v[70:71], v[70:71], v[78:79]
	v_add_f64 v[72:73], v[72:73], v[80:81]
	;; [unrolled: 1-line block ×5, first 2 shown]
	v_fma_f64 v[50:51], s[36:37], v[24:25], v[46:47]
	v_mul_f64 v[52:53], v[26:27], s[36:37]
	v_fma_f64 v[46:47], v[24:25], s[36:37], -v[46:47]
	v_mul_f64 v[18:19], v[18:19], s[14:15]
	v_mul_f64 v[26:27], v[26:27], s[10:11]
	v_add_f64 v[68:69], v[68:69], v[76:77]
	v_add_f64 v[62:63], v[62:63], v[70:71]
	;; [unrolled: 1-line block ×6, first 2 shown]
	v_fma_f64 v[56:57], s[10:11], v[24:25], v[18:19]
	v_fma_f64 v[58:59], s[6:7], v[16:17], v[26:27]
	v_add_f64 v[70:71], v[10:11], -v[14:15]
	v_add_f64 v[60:61], v[60:61], v[68:69]
	v_add_f64 v[48:49], v[48:49], v[54:55]
	v_fma_f64 v[54:55], s[38:39], v[16:17], v[52:53]
	v_fmac_f64_e32 v[52:53], s[34:35], v[16:17]
	v_add_f64 v[56:57], v[56:57], v[64:65]
	v_add_f64 v[58:59], v[58:59], v[66:67]
	v_fma_f64 v[18:19], v[24:25], s[10:11], -v[18:19]
	v_add_f64 v[64:65], v[8:9], v[12:13]
	v_add_f64 v[66:67], v[10:11], v[14:15]
	v_add_f64 v[68:69], v[8:9], -v[12:13]
	v_mul_f64 v[8:9], v[70:71], s[34:35]
	v_add_f64 v[52:53], v[52:53], v[60:61]
	v_add_f64 v[60:61], v[18:19], v[4:5]
	v_fmac_f64_e32 v[26:27], s[14:15], v[16:17]
	v_fma_f64 v[4:5], s[36:37], v[64:65], v[8:9]
	v_mul_f64 v[10:11], v[66:67], s[36:37]
	v_fma_f64 v[8:9], v[64:65], s[36:37], -v[8:9]
	v_mul_f64 v[16:17], v[70:71], s[22:23]
	v_mul_f64 v[18:19], v[66:67], s[20:21]
	;; [unrolled: 1-line block ×3, first 2 shown]
	v_add_f64 v[54:55], v[54:55], v[62:63]
	v_add_f64 v[62:63], v[26:27], v[6:7]
	v_fma_f64 v[6:7], s[38:39], v[68:69], v[10:11]
	v_add_f64 v[8:9], v[8:9], v[20:21]
	v_fma_f64 v[12:13], s[20:21], v[64:65], v[16:17]
	v_fma_f64 v[14:15], s[18:19], v[68:69], v[18:19]
	;; [unrolled: 1-line block ×3, first 2 shown]
	v_add_f64 v[6:7], v[6:7], v[32:33]
	v_fmac_f64_e32 v[10:11], s[34:35], v[68:69]
	v_add_f64 v[12:13], v[12:13], v[34:35]
	v_add_f64 v[14:15], v[14:15], v[40:41]
	v_fma_f64 v[16:17], v[64:65], s[20:21], -v[16:17]
	v_fmac_f64_e32 v[18:19], s[22:23], v[68:69]
	v_add_f64 v[20:21], v[20:21], v[42:43]
	v_mul_f64 v[26:27], v[66:67], s[28:29]
	v_fma_f64 v[24:25], v[64:65], s[28:29], -v[24:25]
	v_mul_f64 v[32:33], v[70:71], s[14:15]
	v_mul_f64 v[34:35], v[66:67], s[10:11]
	;; [unrolled: 1-line block ×4, first 2 shown]
	v_add_f64 v[4:5], v[4:5], v[22:23]
	v_add_f64 v[10:11], v[10:11], v[28:29]
	v_add_f64 v[16:17], v[16:17], v[30:31]
	v_add_f64 v[18:19], v[18:19], v[36:37]
	v_fma_f64 v[22:23], s[30:31], v[68:69], v[26:27]
	v_add_f64 v[24:25], v[24:25], v[38:39]
	v_fmac_f64_e32 v[26:27], s[26:27], v[68:69]
	v_fma_f64 v[28:29], s[10:11], v[64:65], v[32:33]
	v_fma_f64 v[30:31], s[6:7], v[68:69], v[34:35]
	v_fma_f64 v[32:33], v[64:65], s[10:11], -v[32:33]
	v_fmac_f64_e32 v[34:35], s[14:15], v[68:69]
	v_fma_f64 v[36:37], s[16:17], v[64:65], v[40:41]
	v_fma_f64 v[38:39], s[24:25], v[68:69], v[42:43]
	v_fma_f64 v[40:41], v[64:65], s[16:17], -v[40:41]
	v_fmac_f64_e32 v[42:43], s[4:5], v[68:69]
	v_add_f64 v[22:23], v[22:23], v[48:49]
	v_add_f64 v[26:27], v[26:27], v[44:45]
	;; [unrolled: 1-line block ×10, first 2 shown]
	ds_write_b128 v226, v[0:3]
	ds_write_b128 v226, v[4:7] offset:272
	ds_write_b128 v226, v[12:15] offset:544
	;; [unrolled: 1-line block ×10, first 2 shown]
	s_waitcnt lgkmcnt(0)
	s_barrier
	s_and_b64 exec, exec, vcc
	s_cbranch_execz .LBB0_15
; %bb.14:
	global_load_dwordx4 v[2:5], v161, s[8:9]
	v_mad_u64_u32 v[14:15], s[4:5], s2, v160, 0
	v_mad_u64_u32 v[16:17], s[6:7], s0, v254, 0
	ds_read_b128 v[6:9], v226
	ds_read_b128 v[10:13], v226 offset:176
	v_mov_b32_e32 v18, v15
	v_mov_b32_e32 v20, v17
	v_mad_u64_u32 v[18:19], s[2:3], s3, v160, v[18:19]
	v_mov_b32_e32 v0, s12
	v_mov_b32_e32 v1, s13
	v_mad_u64_u32 v[20:21], s[2:3], s1, v254, v[20:21]
	v_mov_b32_e32 v15, v18
	v_mov_b32_e32 v17, v20
	v_lshl_add_u64 v[0:1], v[14:15], 4, v[0:1]
	s_mov_b32 s4, 0xb8d015e7
	v_lshl_add_u64 v[14:15], v[16:17], 4, v[0:1]
	s_mov_b32 s5, 0x3f75e75b
	s_mul_i32 s2, s1, 0xb0
	s_waitcnt vmcnt(0) lgkmcnt(1)
	v_mul_f64 v[16:17], v[8:9], v[4:5]
	v_mul_f64 v[4:5], v[6:7], v[4:5]
	v_fmac_f64_e32 v[16:17], v[6:7], v[2:3]
	v_fma_f64 v[4:5], v[2:3], v[8:9], -v[4:5]
	v_mul_f64 v[2:3], v[16:17], s[4:5]
	v_mul_f64 v[4:5], v[4:5], s[4:5]
	global_store_dwordx4 v[14:15], v[2:5], off
	global_load_dwordx4 v[4:7], v161, s[8:9] offset:176
	s_waitcnt vmcnt(0) lgkmcnt(0)
	v_mul_f64 v[8:9], v[12:13], v[6:7]
	v_mov_b32_e32 v2, 0xb0
	v_mul_f64 v[6:7], v[10:11], v[6:7]
	v_mad_u64_u32 v[16:17], s[6:7], s0, v2, v[14:15]
	v_fmac_f64_e32 v[8:9], v[10:11], v[4:5]
	v_fma_f64 v[6:7], v[4:5], v[12:13], -v[6:7]
	v_add_u32_e32 v17, s2, v17
	v_mul_f64 v[4:5], v[8:9], s[4:5]
	v_mul_f64 v[6:7], v[6:7], s[4:5]
	global_store_dwordx4 v[16:17], v[4:7], off
	global_load_dwordx4 v[4:7], v161, s[8:9] offset:352
	ds_read_b128 v[8:11], v226 offset:352
	ds_read_b128 v[12:15], v226 offset:528
	v_mad_u64_u32 v[16:17], s[6:7], s0, v2, v[16:17]
	v_add_u32_e32 v17, s2, v17
	s_waitcnt vmcnt(0) lgkmcnt(1)
	v_mul_f64 v[18:19], v[10:11], v[6:7]
	v_mul_f64 v[6:7], v[8:9], v[6:7]
	v_fmac_f64_e32 v[18:19], v[8:9], v[4:5]
	v_fma_f64 v[6:7], v[4:5], v[10:11], -v[6:7]
	v_mul_f64 v[4:5], v[18:19], s[4:5]
	v_mul_f64 v[6:7], v[6:7], s[4:5]
	global_store_dwordx4 v[16:17], v[4:7], off
	global_load_dwordx4 v[4:7], v161, s[8:9] offset:528
	v_mad_u64_u32 v[16:17], s[6:7], s0, v2, v[16:17]
	v_add_u32_e32 v17, s2, v17
	s_waitcnt vmcnt(0) lgkmcnt(0)
	v_mul_f64 v[8:9], v[14:15], v[6:7]
	v_mul_f64 v[6:7], v[12:13], v[6:7]
	v_fmac_f64_e32 v[8:9], v[12:13], v[4:5]
	v_fma_f64 v[6:7], v[4:5], v[14:15], -v[6:7]
	v_mul_f64 v[4:5], v[8:9], s[4:5]
	v_mul_f64 v[6:7], v[6:7], s[4:5]
	global_store_dwordx4 v[16:17], v[4:7], off
	global_load_dwordx4 v[4:7], v161, s[8:9] offset:704
	ds_read_b128 v[8:11], v226 offset:704
	ds_read_b128 v[12:15], v226 offset:880
	v_mad_u64_u32 v[16:17], s[6:7], s0, v2, v[16:17]
	v_add_u32_e32 v17, s2, v17
	s_waitcnt vmcnt(0) lgkmcnt(1)
	v_mul_f64 v[18:19], v[10:11], v[6:7]
	v_mul_f64 v[6:7], v[8:9], v[6:7]
	v_fmac_f64_e32 v[18:19], v[8:9], v[4:5]
	v_fma_f64 v[6:7], v[4:5], v[10:11], -v[6:7]
	v_mul_f64 v[4:5], v[18:19], s[4:5]
	v_mul_f64 v[6:7], v[6:7], s[4:5]
	global_store_dwordx4 v[16:17], v[4:7], off
	global_load_dwordx4 v[4:7], v161, s[8:9] offset:880
	v_mad_u64_u32 v[16:17], s[6:7], s0, v2, v[16:17]
	v_add_u32_e32 v17, s2, v17
	s_waitcnt vmcnt(0) lgkmcnt(0)
	v_mul_f64 v[8:9], v[14:15], v[6:7]
	v_mul_f64 v[6:7], v[12:13], v[6:7]
	v_fmac_f64_e32 v[8:9], v[12:13], v[4:5]
	v_fma_f64 v[6:7], v[4:5], v[14:15], -v[6:7]
	;; [unrolled: 24-line block ×7, first 2 shown]
	v_mul_f64 v[2:3], v[2:3], s[4:5]
	v_mul_f64 v[4:5], v[4:5], s[4:5]
	global_store_dwordx4 v[8:9], v[2:5], off
	global_load_dwordx4 v[2:5], v161, s[8:9] offset:2816
	ds_read_b128 v[6:9], v226 offset:2816
	v_or_b32_e32 v13, 0xb0, v254
	v_mad_u64_u32 v[10:11], s[2:3], s0, v13, 0
	v_mov_b32_e32 v12, v11
	v_mad_u64_u32 v[12:13], s[0:1], s1, v13, v[12:13]
	v_mov_b32_e32 v11, v12
	v_lshl_add_u64 v[0:1], v[10:11], 4, v[0:1]
	s_waitcnt vmcnt(0) lgkmcnt(0)
	v_mul_f64 v[12:13], v[8:9], v[4:5]
	v_mul_f64 v[4:5], v[6:7], v[4:5]
	v_fmac_f64_e32 v[12:13], v[6:7], v[2:3]
	v_fma_f64 v[4:5], v[2:3], v[8:9], -v[4:5]
	v_mul_f64 v[2:3], v[12:13], s[4:5]
	v_mul_f64 v[4:5], v[4:5], s[4:5]
	global_store_dwordx4 v[0:1], v[2:5], off
.LBB0_15:
	s_endpgm
	.section	.rodata,"a",@progbits
	.p2align	6, 0x0
	.amdhsa_kernel bluestein_single_back_len187_dim1_dp_op_CI_CI
		.amdhsa_group_segment_fixed_size 20944
		.amdhsa_private_segment_fixed_size 0
		.amdhsa_kernarg_size 104
		.amdhsa_user_sgpr_count 2
		.amdhsa_user_sgpr_dispatch_ptr 0
		.amdhsa_user_sgpr_queue_ptr 0
		.amdhsa_user_sgpr_kernarg_segment_ptr 1
		.amdhsa_user_sgpr_dispatch_id 0
		.amdhsa_user_sgpr_kernarg_preload_length 0
		.amdhsa_user_sgpr_kernarg_preload_offset 0
		.amdhsa_user_sgpr_private_segment_size 0
		.amdhsa_uses_dynamic_stack 0
		.amdhsa_enable_private_segment 0
		.amdhsa_system_sgpr_workgroup_id_x 1
		.amdhsa_system_sgpr_workgroup_id_y 0
		.amdhsa_system_sgpr_workgroup_id_z 0
		.amdhsa_system_sgpr_workgroup_info 0
		.amdhsa_system_vgpr_workitem_id 0
		.amdhsa_next_free_vgpr 398
		.amdhsa_next_free_sgpr 60
		.amdhsa_accum_offset 256
		.amdhsa_reserve_vcc 1
		.amdhsa_float_round_mode_32 0
		.amdhsa_float_round_mode_16_64 0
		.amdhsa_float_denorm_mode_32 3
		.amdhsa_float_denorm_mode_16_64 3
		.amdhsa_dx10_clamp 1
		.amdhsa_ieee_mode 1
		.amdhsa_fp16_overflow 0
		.amdhsa_tg_split 0
		.amdhsa_exception_fp_ieee_invalid_op 0
		.amdhsa_exception_fp_denorm_src 0
		.amdhsa_exception_fp_ieee_div_zero 0
		.amdhsa_exception_fp_ieee_overflow 0
		.amdhsa_exception_fp_ieee_underflow 0
		.amdhsa_exception_fp_ieee_inexact 0
		.amdhsa_exception_int_div_zero 0
	.end_amdhsa_kernel
	.text
.Lfunc_end0:
	.size	bluestein_single_back_len187_dim1_dp_op_CI_CI, .Lfunc_end0-bluestein_single_back_len187_dim1_dp_op_CI_CI
                                        ; -- End function
	.section	.AMDGPU.csdata,"",@progbits
; Kernel info:
; codeLenInByte = 25716
; NumSgprs: 66
; NumVgprs: 256
; NumAgprs: 142
; TotalNumVgprs: 398
; ScratchSize: 0
; MemoryBound: 0
; FloatMode: 240
; IeeeMode: 1
; LDSByteSize: 20944 bytes/workgroup (compile time only)
; SGPRBlocks: 8
; VGPRBlocks: 49
; NumSGPRsForWavesPerEU: 66
; NumVGPRsForWavesPerEU: 398
; AccumOffset: 256
; Occupancy: 1
; WaveLimiterHint : 1
; COMPUTE_PGM_RSRC2:SCRATCH_EN: 0
; COMPUTE_PGM_RSRC2:USER_SGPR: 2
; COMPUTE_PGM_RSRC2:TRAP_HANDLER: 0
; COMPUTE_PGM_RSRC2:TGID_X_EN: 1
; COMPUTE_PGM_RSRC2:TGID_Y_EN: 0
; COMPUTE_PGM_RSRC2:TGID_Z_EN: 0
; COMPUTE_PGM_RSRC2:TIDIG_COMP_CNT: 0
; COMPUTE_PGM_RSRC3_GFX90A:ACCUM_OFFSET: 63
; COMPUTE_PGM_RSRC3_GFX90A:TG_SPLIT: 0
	.text
	.p2alignl 6, 3212836864
	.fill 256, 4, 3212836864
	.type	__hip_cuid_1080fc36bf2eb997,@object ; @__hip_cuid_1080fc36bf2eb997
	.section	.bss,"aw",@nobits
	.globl	__hip_cuid_1080fc36bf2eb997
__hip_cuid_1080fc36bf2eb997:
	.byte	0                               ; 0x0
	.size	__hip_cuid_1080fc36bf2eb997, 1

	.ident	"AMD clang version 19.0.0git (https://github.com/RadeonOpenCompute/llvm-project roc-6.4.0 25133 c7fe45cf4b819c5991fe208aaa96edf142730f1d)"
	.section	".note.GNU-stack","",@progbits
	.addrsig
	.addrsig_sym __hip_cuid_1080fc36bf2eb997
	.amdgpu_metadata
---
amdhsa.kernels:
  - .agpr_count:     142
    .args:
      - .actual_access:  read_only
        .address_space:  global
        .offset:         0
        .size:           8
        .value_kind:     global_buffer
      - .actual_access:  read_only
        .address_space:  global
        .offset:         8
        .size:           8
        .value_kind:     global_buffer
      - .actual_access:  read_only
        .address_space:  global
        .offset:         16
        .size:           8
        .value_kind:     global_buffer
      - .actual_access:  read_only
        .address_space:  global
        .offset:         24
        .size:           8
        .value_kind:     global_buffer
      - .actual_access:  read_only
        .address_space:  global
        .offset:         32
        .size:           8
        .value_kind:     global_buffer
      - .offset:         40
        .size:           8
        .value_kind:     by_value
      - .address_space:  global
        .offset:         48
        .size:           8
        .value_kind:     global_buffer
      - .address_space:  global
        .offset:         56
        .size:           8
        .value_kind:     global_buffer
      - .address_space:  global
        .offset:         64
        .size:           8
        .value_kind:     global_buffer
      - .address_space:  global
        .offset:         72
        .size:           8
        .value_kind:     global_buffer
      - .offset:         80
        .size:           4
        .value_kind:     by_value
      - .address_space:  global
        .offset:         88
        .size:           8
        .value_kind:     global_buffer
      - .address_space:  global
        .offset:         96
        .size:           8
        .value_kind:     global_buffer
    .group_segment_fixed_size: 20944
    .kernarg_segment_align: 8
    .kernarg_segment_size: 104
    .language:       OpenCL C
    .language_version:
      - 2
      - 0
    .max_flat_workgroup_size: 119
    .name:           bluestein_single_back_len187_dim1_dp_op_CI_CI
    .private_segment_fixed_size: 0
    .sgpr_count:     66
    .sgpr_spill_count: 0
    .symbol:         bluestein_single_back_len187_dim1_dp_op_CI_CI.kd
    .uniform_work_group_size: 1
    .uses_dynamic_stack: false
    .vgpr_count:     398
    .vgpr_spill_count: 0
    .wavefront_size: 64
amdhsa.target:   amdgcn-amd-amdhsa--gfx950
amdhsa.version:
  - 1
  - 2
...

	.end_amdgpu_metadata
